;; amdgpu-corpus repo=ROCm/composable_kernel kind=compiled arch=gfx950 opt=O3
	.amdgcn_target "amdgcn-amd-amdhsa--gfx950"
	.amdhsa_code_object_version 6
	.section	.text._ZN2ckL12flush_icacheEv,"axG",@progbits,_ZN2ckL12flush_icacheEv,comdat
	.globl	_ZN2ckL12flush_icacheEv         ; -- Begin function _ZN2ckL12flush_icacheEv
	.p2align	8
	.type	_ZN2ckL12flush_icacheEv,@function
_ZN2ckL12flush_icacheEv:                ; @_ZN2ckL12flush_icacheEv
; %bb.0:
	;;#ASMSTART
	s_icache_inv 
	s_nop 0 
	s_nop 0 
	;; [unrolled: 1-line block ×16, first 2 shown]
	
	;;#ASMEND
	s_endpgm
	.section	.rodata,"a",@progbits
	.p2align	6, 0x0
	.amdhsa_kernel _ZN2ckL12flush_icacheEv
		.amdhsa_group_segment_fixed_size 0
		.amdhsa_private_segment_fixed_size 0
		.amdhsa_kernarg_size 0
		.amdhsa_user_sgpr_count 0
		.amdhsa_user_sgpr_dispatch_ptr 0
		.amdhsa_user_sgpr_queue_ptr 0
		.amdhsa_user_sgpr_kernarg_segment_ptr 0
		.amdhsa_user_sgpr_dispatch_id 0
		.amdhsa_user_sgpr_kernarg_preload_length 0
		.amdhsa_user_sgpr_kernarg_preload_offset 0
		.amdhsa_user_sgpr_private_segment_size 0
		.amdhsa_uses_dynamic_stack 0
		.amdhsa_enable_private_segment 0
		.amdhsa_system_sgpr_workgroup_id_x 1
		.amdhsa_system_sgpr_workgroup_id_y 0
		.amdhsa_system_sgpr_workgroup_id_z 0
		.amdhsa_system_sgpr_workgroup_info 0
		.amdhsa_system_vgpr_workitem_id 0
		.amdhsa_next_free_vgpr 1
		.amdhsa_next_free_sgpr 0
		.amdhsa_accum_offset 4
		.amdhsa_reserve_vcc 0
		.amdhsa_float_round_mode_32 0
		.amdhsa_float_round_mode_16_64 0
		.amdhsa_float_denorm_mode_32 3
		.amdhsa_float_denorm_mode_16_64 3
		.amdhsa_dx10_clamp 1
		.amdhsa_ieee_mode 1
		.amdhsa_fp16_overflow 0
		.amdhsa_tg_split 0
		.amdhsa_exception_fp_ieee_invalid_op 0
		.amdhsa_exception_fp_denorm_src 0
		.amdhsa_exception_fp_ieee_div_zero 0
		.amdhsa_exception_fp_ieee_overflow 0
		.amdhsa_exception_fp_ieee_underflow 0
		.amdhsa_exception_fp_ieee_inexact 0
		.amdhsa_exception_int_div_zero 0
	.end_amdhsa_kernel
	.section	.text._ZN2ckL12flush_icacheEv,"axG",@progbits,_ZN2ckL12flush_icacheEv,comdat
.Lfunc_end0:
	.size	_ZN2ckL12flush_icacheEv, .Lfunc_end0-_ZN2ckL12flush_icacheEv
                                        ; -- End function
	.set _ZN2ckL12flush_icacheEv.num_vgpr, 0
	.set _ZN2ckL12flush_icacheEv.num_agpr, 0
	.set _ZN2ckL12flush_icacheEv.numbered_sgpr, 0
	.set _ZN2ckL12flush_icacheEv.num_named_barrier, 0
	.set _ZN2ckL12flush_icacheEv.private_seg_size, 0
	.set _ZN2ckL12flush_icacheEv.uses_vcc, 0
	.set _ZN2ckL12flush_icacheEv.uses_flat_scratch, 0
	.set _ZN2ckL12flush_icacheEv.has_dyn_sized_stack, 0
	.set _ZN2ckL12flush_icacheEv.has_recursion, 0
	.set _ZN2ckL12flush_icacheEv.has_indirect_call, 0
	.section	.AMDGPU.csdata,"",@progbits
; Kernel info:
; codeLenInByte = 276
; TotalNumSgprs: 6
; NumVgprs: 0
; NumAgprs: 0
; TotalNumVgprs: 0
; ScratchSize: 0
; MemoryBound: 0
; FloatMode: 240
; IeeeMode: 1
; LDSByteSize: 0 bytes/workgroup (compile time only)
; SGPRBlocks: 0
; VGPRBlocks: 0
; NumSGPRsForWavesPerEU: 6
; NumVGPRsForWavesPerEU: 1
; AccumOffset: 4
; Occupancy: 8
; WaveLimiterHint : 0
; COMPUTE_PGM_RSRC2:SCRATCH_EN: 0
; COMPUTE_PGM_RSRC2:USER_SGPR: 0
; COMPUTE_PGM_RSRC2:TRAP_HANDLER: 0
; COMPUTE_PGM_RSRC2:TGID_X_EN: 1
; COMPUTE_PGM_RSRC2:TGID_Y_EN: 0
; COMPUTE_PGM_RSRC2:TGID_Z_EN: 0
; COMPUTE_PGM_RSRC2:TIDIG_COMP_CNT: 0
; COMPUTE_PGM_RSRC3_GFX90A:ACCUM_OFFSET: 0
; COMPUTE_PGM_RSRC3_GFX90A:TG_SPLIT: 0
	.section	.text._ZN2ck27kernel_gemm_xdl_cshuffle_v1INS_43GridwiseGemm_k0mk1_k0nk1_mn_xdl_cshuffle_v1INS_13tensor_layout4gemm8RowMajorES4_S4_DF16_DF16_fDF16_DF16_NS_16tensor_operation12element_wise11PassThroughES7_S7_LNS5_6device18GemmSpecializationE0ELNS_25InMemoryDataOperationEnumE0ELi1ELi256ELi256ELi128ELi32ELi8ELi2ELi16ELi16ELi8ELi4ENS_8SequenceIJLi4ELi64ELi1EEEENSB_IJLi1ELi0ELi2EEEESD_Li2ELi8ELi8ELb0ELi1ENSB_IJLi8ELi32ELi1EEEENSB_IJLi0ELi2ELi1EEEESF_Li1ELi4ELi2ELb0ELi0ELi1ELi2ENSB_IJLi1ELi16ELi1ELi16EEEELi4ELNS_13LoopSchedulerE1ELNS_15PipelineVersionE0EDF16_DF16_EELb1EEEvNT_8ArgumentE,"axG",@progbits,_ZN2ck27kernel_gemm_xdl_cshuffle_v1INS_43GridwiseGemm_k0mk1_k0nk1_mn_xdl_cshuffle_v1INS_13tensor_layout4gemm8RowMajorES4_S4_DF16_DF16_fDF16_DF16_NS_16tensor_operation12element_wise11PassThroughES7_S7_LNS5_6device18GemmSpecializationE0ELNS_25InMemoryDataOperationEnumE0ELi1ELi256ELi256ELi128ELi32ELi8ELi2ELi16ELi16ELi8ELi4ENS_8SequenceIJLi4ELi64ELi1EEEENSB_IJLi1ELi0ELi2EEEESD_Li2ELi8ELi8ELb0ELi1ENSB_IJLi8ELi32ELi1EEEENSB_IJLi0ELi2ELi1EEEESF_Li1ELi4ELi2ELb0ELi0ELi1ELi2ENSB_IJLi1ELi16ELi1ELi16EEEELi4ELNS_13LoopSchedulerE1ELNS_15PipelineVersionE0EDF16_DF16_EELb1EEEvNT_8ArgumentE,comdat
	.protected	_ZN2ck27kernel_gemm_xdl_cshuffle_v1INS_43GridwiseGemm_k0mk1_k0nk1_mn_xdl_cshuffle_v1INS_13tensor_layout4gemm8RowMajorES4_S4_DF16_DF16_fDF16_DF16_NS_16tensor_operation12element_wise11PassThroughES7_S7_LNS5_6device18GemmSpecializationE0ELNS_25InMemoryDataOperationEnumE0ELi1ELi256ELi256ELi128ELi32ELi8ELi2ELi16ELi16ELi8ELi4ENS_8SequenceIJLi4ELi64ELi1EEEENSB_IJLi1ELi0ELi2EEEESD_Li2ELi8ELi8ELb0ELi1ENSB_IJLi8ELi32ELi1EEEENSB_IJLi0ELi2ELi1EEEESF_Li1ELi4ELi2ELb0ELi0ELi1ELi2ENSB_IJLi1ELi16ELi1ELi16EEEELi4ELNS_13LoopSchedulerE1ELNS_15PipelineVersionE0EDF16_DF16_EELb1EEEvNT_8ArgumentE ; -- Begin function _ZN2ck27kernel_gemm_xdl_cshuffle_v1INS_43GridwiseGemm_k0mk1_k0nk1_mn_xdl_cshuffle_v1INS_13tensor_layout4gemm8RowMajorES4_S4_DF16_DF16_fDF16_DF16_NS_16tensor_operation12element_wise11PassThroughES7_S7_LNS5_6device18GemmSpecializationE0ELNS_25InMemoryDataOperationEnumE0ELi1ELi256ELi256ELi128ELi32ELi8ELi2ELi16ELi16ELi8ELi4ENS_8SequenceIJLi4ELi64ELi1EEEENSB_IJLi1ELi0ELi2EEEESD_Li2ELi8ELi8ELb0ELi1ENSB_IJLi8ELi32ELi1EEEENSB_IJLi0ELi2ELi1EEEESF_Li1ELi4ELi2ELb0ELi0ELi1ELi2ENSB_IJLi1ELi16ELi1ELi16EEEELi4ELNS_13LoopSchedulerE1ELNS_15PipelineVersionE0EDF16_DF16_EELb1EEEvNT_8ArgumentE
	.globl	_ZN2ck27kernel_gemm_xdl_cshuffle_v1INS_43GridwiseGemm_k0mk1_k0nk1_mn_xdl_cshuffle_v1INS_13tensor_layout4gemm8RowMajorES4_S4_DF16_DF16_fDF16_DF16_NS_16tensor_operation12element_wise11PassThroughES7_S7_LNS5_6device18GemmSpecializationE0ELNS_25InMemoryDataOperationEnumE0ELi1ELi256ELi256ELi128ELi32ELi8ELi2ELi16ELi16ELi8ELi4ENS_8SequenceIJLi4ELi64ELi1EEEENSB_IJLi1ELi0ELi2EEEESD_Li2ELi8ELi8ELb0ELi1ENSB_IJLi8ELi32ELi1EEEENSB_IJLi0ELi2ELi1EEEESF_Li1ELi4ELi2ELb0ELi0ELi1ELi2ENSB_IJLi1ELi16ELi1ELi16EEEELi4ELNS_13LoopSchedulerE1ELNS_15PipelineVersionE0EDF16_DF16_EELb1EEEvNT_8ArgumentE
	.p2align	8
	.type	_ZN2ck27kernel_gemm_xdl_cshuffle_v1INS_43GridwiseGemm_k0mk1_k0nk1_mn_xdl_cshuffle_v1INS_13tensor_layout4gemm8RowMajorES4_S4_DF16_DF16_fDF16_DF16_NS_16tensor_operation12element_wise11PassThroughES7_S7_LNS5_6device18GemmSpecializationE0ELNS_25InMemoryDataOperationEnumE0ELi1ELi256ELi256ELi128ELi32ELi8ELi2ELi16ELi16ELi8ELi4ENS_8SequenceIJLi4ELi64ELi1EEEENSB_IJLi1ELi0ELi2EEEESD_Li2ELi8ELi8ELb0ELi1ENSB_IJLi8ELi32ELi1EEEENSB_IJLi0ELi2ELi1EEEESF_Li1ELi4ELi2ELb0ELi0ELi1ELi2ENSB_IJLi1ELi16ELi1ELi16EEEELi4ELNS_13LoopSchedulerE1ELNS_15PipelineVersionE0EDF16_DF16_EELb1EEEvNT_8ArgumentE,@function
_ZN2ck27kernel_gemm_xdl_cshuffle_v1INS_43GridwiseGemm_k0mk1_k0nk1_mn_xdl_cshuffle_v1INS_13tensor_layout4gemm8RowMajorES4_S4_DF16_DF16_fDF16_DF16_NS_16tensor_operation12element_wise11PassThroughES7_S7_LNS5_6device18GemmSpecializationE0ELNS_25InMemoryDataOperationEnumE0ELi1ELi256ELi256ELi128ELi32ELi8ELi2ELi16ELi16ELi8ELi4ENS_8SequenceIJLi4ELi64ELi1EEEENSB_IJLi1ELi0ELi2EEEESD_Li2ELi8ELi8ELb0ELi1ENSB_IJLi8ELi32ELi1EEEENSB_IJLi0ELi2ELi1EEEESF_Li1ELi4ELi2ELb0ELi0ELi1ELi2ENSB_IJLi1ELi16ELi1ELi16EEEELi4ELNS_13LoopSchedulerE1ELNS_15PipelineVersionE0EDF16_DF16_EELb1EEEvNT_8ArgumentE: ; @_ZN2ck27kernel_gemm_xdl_cshuffle_v1INS_43GridwiseGemm_k0mk1_k0nk1_mn_xdl_cshuffle_v1INS_13tensor_layout4gemm8RowMajorES4_S4_DF16_DF16_fDF16_DF16_NS_16tensor_operation12element_wise11PassThroughES7_S7_LNS5_6device18GemmSpecializationE0ELNS_25InMemoryDataOperationEnumE0ELi1ELi256ELi256ELi128ELi32ELi8ELi2ELi16ELi16ELi8ELi4ENS_8SequenceIJLi4ELi64ELi1EEEENSB_IJLi1ELi0ELi2EEEESD_Li2ELi8ELi8ELb0ELi1ENSB_IJLi8ELi32ELi1EEEENSB_IJLi0ELi2ELi1EEEESF_Li1ELi4ELi2ELb0ELi0ELi1ELi2ENSB_IJLi1ELi16ELi1ELi16EEEELi4ELNS_13LoopSchedulerE1ELNS_15PipelineVersionE0EDF16_DF16_EELb1EEEvNT_8ArgumentE
; %bb.0:
	s_load_dwordx4 s[4:7], s[0:1], 0x10
	s_load_dwordx2 s[20:21], s[0:1], 0x20
	s_ashr_i32 s10, s2, 31
	s_abs_i32 s2, s2
	v_and_b32_e32 v19, 0xfc, v0
	s_waitcnt lgkmcnt(0)
	s_add_i32 s8, s4, 0xff
	s_ashr_i32 s9, s8, 31
	s_add_i32 s3, s5, 0x7f
	s_lshr_b32 s9, s9, 24
	s_add_i32 s8, s8, s9
	s_ashr_i32 s9, s3, 31
	s_lshr_b32 s9, s9, 25
	s_add_i32 s3, s3, s9
	s_ashr_i32 s8, s8, 8
	s_ashr_i32 s3, s3, 7
	s_mul_i32 s9, s3, s8
	s_abs_i32 s9, s9
	v_cvt_f32_u32_e32 v1, s9
	s_sub_i32 s12, 0, s9
	s_add_i32 s11, s6, 0x7fffffff
	s_add_i32 s4, s4, -1
	v_rcp_iflag_f32_e32 v1, v1
	v_and_b32_e32 v28, 3, v0
	v_lshlrev_b32_e32 v18, 3, v28
	s_mul_i32 s16, s4, s7
	v_mul_f32_e32 v1, 0x4f7ffffe, v1
	v_cvt_u32_f32_e32 v1, v1
	s_mul_i32 s11, s11, s20
	v_mul_u32_u24_e32 v36, 0x1010, v28
	v_and_b32_e32 v130, 15, v0
	v_readfirstlane_b32 s13, v1
	s_mul_i32 s12, s12, s13
	s_mul_hi_u32 s12, s13, s12
	s_add_i32 s13, s13, s12
	s_mul_hi_u32 s12, s2, s13
	s_mul_i32 s12, s12, s9
	s_sub_i32 s2, s2, s12
	s_sub_i32 s12, s2, s9
	s_cmp_ge_u32 s2, s9
	s_cselect_b32 s2, s12, s2
	s_sub_i32 s12, s2, s9
	s_cmp_ge_u32 s2, s9
	s_cselect_b32 s2, s12, s2
	s_abs_i32 s9, s3
	v_cvt_f32_u32_e32 v1, s9
	s_sub_i32 s18, 0, s9
	s_xor_b32 s2, s2, s10
	s_sub_i32 s2, s2, s10
	v_rcp_iflag_f32_e32 v1, v1
	s_abs_i32 s17, s2
	s_xor_b32 s10, s2, s3
	s_ashr_i32 s10, s10, 31
	v_mul_f32_e32 v1, 0x4f7ffffe, v1
	v_cvt_u32_f32_e32 v1, v1
	s_load_dwordx4 s[12:15], s[0:1], 0x48
	v_readfirstlane_b32 s19, v1
	s_mul_i32 s18, s18, s19
	s_mul_hi_u32 s18, s19, s18
	s_add_i32 s19, s19, s18
	s_mul_hi_u32 s18, s17, s19
	s_mul_i32 s19, s18, s9
	s_sub_i32 s17, s17, s19
	s_add_i32 s19, s18, 1
	s_sub_i32 s22, s17, s9
	s_cmp_ge_u32 s17, s9
	s_cselect_b32 s18, s19, s18
	s_cselect_b32 s17, s22, s17
	s_add_i32 s19, s18, 1
	s_cmp_ge_u32 s17, s9
	s_cselect_b32 s9, s19, s18
	s_xor_b32 s9, s9, s10
	s_sub_i32 s9, s9, s10
	s_lshr_b32 s10, s8, 29
	s_add_i32 s10, s8, s10
	s_and_b32 s10, s10, -8
	s_sub_i32 s8, s8, s10
	s_cmp_ge_i32 s9, s10
	s_cselect_b32 s8, s8, 8
	s_abs_i32 s17, s8
	v_cvt_f32_u32_e32 v1, s17
	s_mul_i32 s10, s9, s3
	s_sub_i32 s2, s2, s10
	s_ashr_i32 s10, s9, 31
	v_rcp_iflag_f32_e32 v1, v1
	s_lshr_b32 s10, s10, 29
	s_add_i32 s10, s9, s10
	s_and_b32 s25, s10, -8
	v_mul_f32_e32 v1, 0x4f7ffffe, v1
	v_cvt_u32_f32_e32 v1, v1
	s_sub_i32 s9, s9, s25
	s_sub_i32 s10, 0, s17
	s_mul_i32 s3, s9, s3
	v_readfirstlane_b32 s18, v1
	s_mul_i32 s10, s10, s18
	s_add_i32 s3, s3, s2
	s_mul_hi_u32 s10, s18, s10
	s_abs_i32 s9, s3
	s_add_i32 s18, s18, s10
	s_mul_hi_u32 s10, s9, s18
	s_mul_i32 s18, s10, s17
	s_xor_b32 s2, s3, s8
	s_sub_i32 s9, s9, s18
	s_ashr_i32 s2, s2, 31
	s_add_i32 s18, s10, 1
	s_sub_i32 s19, s9, s17
	s_cmp_ge_u32 s9, s17
	s_cselect_b32 s10, s18, s10
	s_cselect_b32 s9, s19, s9
	s_add_i32 s18, s10, 1
	s_cmp_ge_u32 s9, s17
	s_cselect_b32 s9, s18, s10
	s_xor_b32 s9, s9, s2
	s_sub_i32 s24, s9, s2
	s_mul_i32 s2, s24, s8
	s_sub_i32 s2, s3, s2
	s_add_i32 s25, s25, s2
	v_lshl_or_b32 v29, s25, 8, v19
	v_lshrrev_b32_e32 v1, 4, v0
	v_mul_lo_u32 v30, v29, s7
	v_and_b32_e32 v31, 14, v1
	v_add_u32_e32 v2, v30, v18
	v_lshlrev_b32_e32 v1, 2, v0
	v_mul_lo_u32 v3, v31, s20
	s_lshl_b32 s2, s24, 7
	v_and_b32_e32 v32, 0x7c, v1
	v_lshlrev_b32_e32 v3, 1, v3
	v_add_u32_e32 v10, s7, v2
	v_add3_u32 v24, v3, v32, s2
	s_add_i32 s2, s6, s16
	v_lshlrev_b32_e32 v11, 1, v10
	v_add_u32_e32 v10, s7, v10
	s_lshl_b32 s18, s2, 1
	s_load_dword s2, s[0:1], 0x34
	s_waitcnt lgkmcnt(0)
	s_and_b32 s17, s13, 0xffff
	s_mov_b32 s19, 0x20000
	s_mov_b32 s16, s12
	v_lshlrev_b32_e32 v33, 1, v2
	v_lshlrev_b32_e32 v20, 1, v10
	s_add_i32 s3, s5, s11
	s_mov_b32 s10, s18
	buffer_load_dwordx4 v[2:5], v33, s[16:19], 0 offen
	buffer_load_dwordx4 v[6:9], v11, s[16:19], 0 offen
	v_add_lshl_u32 v21, v10, s7, 1
	buffer_load_dwordx4 v[10:13], v20, s[16:19], 0 offen
	buffer_load_dwordx4 v[14:17], v21, s[16:19], 0 offen
	s_lshl_b32 s18, s3, 1
	v_add_u32_e32 v26, s20, v24
	s_lshl_b32 s3, s20, 1
	s_mov_b32 s9, s17
	s_and_b32 s17, s15, 0xffff
	s_mov_b32 s16, s14
	v_lshlrev_b32_e32 v25, 1, v24
	v_lshlrev_b32_e32 v27, 1, v26
	v_add_lshl_u32 v34, v26, s3, 1
	buffer_load_dwordx2 v[20:21], v25, s[16:19], 0 offen
	buffer_load_dwordx2 v[22:23], v27, s[16:19], 0 offen
	v_add_lshl_u32 v35, s3, v24, 1
	buffer_load_dwordx2 v[24:25], v34, s[16:19], 0 offen
	buffer_load_dwordx2 v[26:27], v35, s[16:19], 0 offen
	s_movk_i32 s8, 0x1010
	v_lshlrev_b32_e32 v19, 4, v19
	v_mad_u32_u24 v28, v28, s8, v19
	s_mov_b32 s6, 0x5040100
	s_mov_b32 s13, 0x7060302
	v_and_b32_e32 v35, 0x80, v0
	s_load_dwordx2 s[22:23], s[0:1], 0x58
	s_ashr_i32 s1, s2, 31
	s_lshr_b32 s1, s1, 30
	s_add_i32 s2, s2, s1
	s_mov_b32 s11, s19
	s_mov_b32 s3, s19
	;; [unrolled: 1-line block ×3, first 2 shown]
	s_ashr_i32 s12, s2, 2
	s_mov_b32 s2, s18
	v_bfe_u32 v34, v0, 4, 2
	s_mov_b32 s0, s14
	s_mov_b32 s1, s17
	s_max_i32 s26, s12, 2
	s_lshl_b32 s17, s24, 8
	s_mul_i32 s12, s20, 0x44
	s_lshl_b32 s14, s20, 6
	s_mul_i32 s15, s20, 0x46
	s_mul_i32 s16, s20, 0x42
	s_add_i32 s12, s17, s12
	s_add_i32 s15, s17, s15
	;; [unrolled: 1-line block ×4, first 2 shown]
	v_add_u32_e32 v137, 64, v33
	v_add_u32_e32 v138, v36, v19
	s_waitcnt vmcnt(7)
	ds_write_b128 v28, v[2:5]
	s_waitcnt vmcnt(6)
	ds_write_b128 v28, v[6:9] offset:16
	s_waitcnt vmcnt(5)
	ds_write_b128 v28, v[10:13] offset:32
	;; [unrolled: 2-line block ×3, first 2 shown]
	v_lshlrev_b32_e32 v10, 9, v31
	v_lshlrev_b32_e32 v11, 2, v32
	v_or_b32_e32 v12, v10, v11
	v_add_u32_e32 v139, v10, v11
	s_waitcnt vmcnt(2)
	v_perm_b32 v2, v22, v20, s6
	v_perm_b32 v3, v22, v20, s13
	s_waitcnt vmcnt(0)
	v_perm_b32 v6, v24, v26, s6
	v_perm_b32 v7, v24, v26, s13
	;; [unrolled: 1-line block ×6, first 2 shown]
	ds_write_b128 v12, v[6:9] offset:16944
	ds_write_b128 v12, v[2:5] offset:16432
	v_lshlrev_b32_e32 v2, 1, v35
	v_lshl_or_b32 v4, v130, 4, v2
	v_lshlrev_b32_e32 v2, 2, v130
	v_and_or_b32 v6, v0, 64, v2
	v_lshlrev_b32_e32 v2, 7, v0
	v_and_b32_e32 v7, 0x1800, v2
	v_lshrrev_b32_e32 v2, 5, v0
	v_mul_lo_u32 v2, s20, v2
	v_and_b32_e32 v3, 31, v0
	v_add_lshl_u32 v131, v2, v3, 3
	v_or_b32_e32 v2, 3, v29
	v_mad_u64_u32 v[2:3], s[18:19], s7, v2, v[18:19]
	v_lshl_add_u32 v134, v2, 1, 64
	v_or_b32_e32 v2, 2, v29
	v_mad_u64_u32 v[2:3], s[18:19], s7, v2, v[18:19]
	v_lshl_add_u32 v135, v2, 1, 64
	v_add3_u32 v2, v30, s7, v18
	v_mul_u32_u24_e32 v5, 0x1010, v34
	v_lshl_add_u32 v136, v2, 1, 64
	v_mov_b32_e32 v2, 0
	v_add_u32_e32 v132, v6, v7
	s_add_i32 s7, s26, -1
	v_add_u32_e32 v133, v4, v5
	v_mov_b32_e32 v3, v2
	v_mov_b32_e32 v4, v2
	;; [unrolled: 1-line block ×127, first 2 shown]
	v_add_u32_e32 v140, 0x4000, v132
	v_add_u32_e32 v141, 0x4400, v132
.LBB1_1:                                ; =>This Inner Loop Header: Depth=1
	v_add_u32_e32 v158, s17, v131
	buffer_load_dwordx4 v[142:145], v137, s[8:11], 0 offen
	buffer_load_dwordx4 v[146:149], v136, s[8:11], 0 offen
	;; [unrolled: 1-line block ×4, first 2 shown]
	s_waitcnt lgkmcnt(0)
	s_barrier
	v_add_u32_e32 v159, s16, v131
	v_add_u32_e32 v160, s15, v131
	v_add_u32_e32 v161, s12, v131
	buffer_load_dwordx2 v[206:207], v158, s[0:3], 0 offen
	buffer_load_dwordx2 v[208:209], v159, s[0:3], 0 offen
	;; [unrolled: 1-line block ×4, first 2 shown]
	ds_read_b128 v[158:161], v133
	ds_read_b128 v[162:165], v133 offset:512
	ds_read_b128 v[166:169], v133 offset:1024
	;; [unrolled: 1-line block ×7, first 2 shown]
	ds_read2_b32 v[202:203], v140 offset0:12 offset1:44
	ds_read2_b32 v[190:191], v140 offset0:140 offset1:172
	;; [unrolled: 1-line block ×8, first 2 shown]
	; sched_barrier mask(0x00000000)
	;;#ASMSTART
	s_barrier
	;;#ASMEND
	; sched_barrier mask(0x00000000)
	s_waitcnt lgkmcnt(7)
	v_mov_b32_e32 v198, v202
	s_waitcnt lgkmcnt(6)
	v_mov_b32_e32 v199, v190
	;; [unrolled: 2-line block ×4, first 2 shown]
	s_nop 1
	v_mfma_f32_16x16x32_f16 v[126:129], v[158:161], v[198:201], v[126:129]
	; sched_barrier mask(0x00000000)
	s_setprio 1
	; sched_barrier mask(0x00000000)
	v_mov_b32_e32 v190, v203
	v_mov_b32_e32 v192, v205
	s_waitcnt lgkmcnt(3)
	v_mov_b32_e32 v202, v214
	s_waitcnt lgkmcnt(2)
	;; [unrolled: 2-line block ×4, first 2 shown]
	v_mov_b32_e32 v205, v196
	v_mov_b32_e32 v194, v215
	;; [unrolled: 1-line block ×3, first 2 shown]
	v_mfma_f32_16x16x32_f16 v[122:125], v[158:161], v[190:193], v[122:125]
	v_mfma_f32_16x16x32_f16 v[118:121], v[158:161], v[202:205], v[118:121]
	;; [unrolled: 1-line block ×30, first 2 shown]
	; sched_barrier mask(0x00000000)
	s_waitcnt lgkmcnt(0)
	s_barrier
	; sched_barrier mask(0x00000000)
	v_mfma_f32_16x16x32_f16 v[2:5], v[186:189], v[194:197], v[2:5]
	; sched_barrier mask(0x00000000)
	s_setprio 0
	; sched_barrier mask(0x00000000)
	s_add_i32 s12, s12, s14
	s_add_i32 s15, s15, s14
	;; [unrolled: 1-line block ×4, first 2 shown]
	s_add_i32 s7, s7, -1
	s_waitcnt vmcnt(7)
	ds_write_b128 v138, v[142:145]
	s_waitcnt vmcnt(6)
	ds_write_b128 v138, v[146:149] offset:16
	s_waitcnt vmcnt(5)
	ds_write_b128 v138, v[150:153] offset:32
	;; [unrolled: 2-line block ×3, first 2 shown]
	s_waitcnt vmcnt(0)
	v_perm_b32 v146, v210, v212, s6
	v_perm_b32 v147, v210, v212, s13
	;; [unrolled: 1-line block ×4, first 2 shown]
	v_add_u32_e32 v134, 64, v134
	v_add_u32_e32 v135, 64, v135
	;; [unrolled: 1-line block ×3, first 2 shown]
	s_cmp_lg_u32 s7, 0
	v_add_u32_e32 v137, 64, v137
	v_perm_b32 v142, v208, v206, s6
	v_perm_b32 v143, v208, v206, s13
	;; [unrolled: 1-line block ×4, first 2 shown]
	ds_write_b128 v139, v[146:149] offset:16944
	ds_write_b128 v139, v[142:145] offset:16432
	s_cbranch_scc1 .LBB1_1
; %bb.2:
	s_waitcnt lgkmcnt(0)
	s_barrier
	ds_read_b128 v[134:137], v133
	ds_read_b128 v[138:141], v133 offset:512
	ds_read_b128 v[142:145], v133 offset:1024
	;; [unrolled: 1-line block ×7, first 2 shown]
	v_add_u32_e32 v131, 0x4000, v132
	v_add_u32_e32 v172, 0x4400, v132
	ds_read2_b32 v[178:179], v131 offset0:12 offset1:44
	ds_read2_b32 v[166:167], v131 offset0:140 offset1:172
	;; [unrolled: 1-line block ×8, first 2 shown]
	s_mul_i32 s0, s4, s21
	s_mul_hi_u32 s1, 0, s21
	s_add_i32 s2, s1, s0
	; sched_barrier mask(0x00000000)
	;;#ASMSTART
	s_barrier
	;;#ASMEND
	; sched_barrier mask(0x00000000)
	s_waitcnt lgkmcnt(7)
	v_mov_b32_e32 v174, v178
	s_waitcnt lgkmcnt(6)
	v_mov_b32_e32 v175, v166
	;; [unrolled: 2-line block ×4, first 2 shown]
	s_nop 1
	v_mfma_f32_16x16x32_f16 v[126:129], v[134:137], v[174:177], v[126:129]
	; sched_barrier mask(0x00000000)
	s_setprio 1
	; sched_barrier mask(0x00000000)
	v_mov_b32_e32 v166, v179
	v_mov_b32_e32 v168, v133
	s_waitcnt lgkmcnt(3)
	v_mov_b32_e32 v178, v182
	s_waitcnt lgkmcnt(2)
	;; [unrolled: 2-line block ×4, first 2 shown]
	v_mov_b32_e32 v181, v172
	v_mov_b32_e32 v170, v183
	;; [unrolled: 1-line block ×3, first 2 shown]
	v_mfma_f32_16x16x32_f16 v[122:125], v[134:137], v[166:169], v[122:125]
	v_mfma_f32_16x16x32_f16 v[118:121], v[134:137], v[178:181], v[118:121]
	;; [unrolled: 1-line block ×30, first 2 shown]
	; sched_barrier mask(0x00000000)
	s_waitcnt lgkmcnt(0)
	s_barrier
	; sched_barrier mask(0x00000000)
	v_mfma_f32_16x16x32_f16 v[2:5], v[162:165], v[170:173], v[2:5]
	; sched_barrier mask(0x00000000)
	s_setprio 0
	; sched_barrier mask(0x00000000)
	v_lshrrev_b32_e32 v131, 2, v0
	v_lshrrev_b32_e32 v132, 3, v0
	v_and_b32_e32 v131, 12, v131
	v_cvt_f16_f32_e32 v126, v126
	v_cvt_f16_f32_e32 v125, v125
	v_and_or_b32 v131, v132, 16, v131
	v_and_b32_e32 v1, 60, v1
	v_lshrrev_b32_e32 v0, 1, v0
	v_cvt_f16_f32_e32 v127, v127
	v_cvt_f16_f32_e32 v124, v124
	v_and_b32_e32 v134, 30, v132
	v_lshl_or_b32 v132, s24, 7, v1
	v_and_b32_e32 v0, 32, v0
	v_lshlrev_b32_e32 v131, 7, v131
	v_lshlrev_b32_e32 v130, 1, v130
	v_cvt_f16_f32_e32 v128, v128
	v_cvt_f16_f32_e32 v123, v123
	v_lshlrev_b32_e32 v1, 1, v1
	v_or3_b32 v0, v0, v131, v130
	v_cvt_f16_f32_e32 v129, v129
	v_cvt_f16_f32_e32 v122, v122
	v_lshl_or_b32 v1, v134, 7, v1
	s_waitcnt lgkmcnt(0)
	s_barrier
	ds_write_b16 v0, v126
	ds_write_b16 v0, v127 offset:128
	ds_write_b16 v0, v128 offset:256
	;; [unrolled: 1-line block ×7, first 2 shown]
	s_waitcnt lgkmcnt(0)
	s_barrier
	ds_read2_b64 v[122:125], v1 offset1:16
	v_lshl_or_b32 v133, s25, 8, v134
	v_mad_u64_u32 v[132:133], s[0:1], v133, s21, v[132:133]
	s_add_i32 s0, s5, s2
	v_cvt_f16_f32_e32 v118, v118
	v_cvt_f16_f32_e32 v117, v117
	s_lshl_b32 s2, s0, 1
	s_and_b32 s1, s23, 0xffff
	s_mov_b32 s3, 0x20000
	s_mov_b32 s0, s22
	v_lshlrev_b32_e32 v126, 1, v132
	v_cvt_f16_f32_e32 v119, v119
	v_cvt_f16_f32_e32 v116, v116
	s_waitcnt lgkmcnt(0)
	buffer_store_dwordx2 v[122:123], v126, s[0:3], 0 offen
	v_add_u32_e32 v122, s21, v132
	v_cvt_f16_f32_e32 v120, v120
	v_cvt_f16_f32_e32 v115, v115
	v_lshlrev_b32_e32 v123, 1, v122
	v_cvt_f16_f32_e32 v121, v121
	v_cvt_f16_f32_e32 v114, v114
	buffer_store_dwordx2 v[124:125], v123, s[0:3], 0 offen
	s_waitcnt lgkmcnt(0)
	s_barrier
	ds_write_b16 v0, v118
	ds_write_b16 v0, v119 offset:128
	ds_write_b16 v0, v120 offset:256
	;; [unrolled: 1-line block ×7, first 2 shown]
	s_waitcnt lgkmcnt(0)
	s_barrier
	ds_read2_b64 v[114:117], v1 offset1:16
	v_cvt_f16_f32_e32 v102, v102
	v_cvt_f16_f32_e32 v101, v101
	;; [unrolled: 1-line block ×4, first 2 shown]
	v_add_u32_e32 v118, 64, v122
	v_cvt_f16_f32_e32 v104, v104
	v_cvt_f16_f32_e32 v99, v99
	s_waitcnt lgkmcnt(0)
	buffer_store_dwordx2 v[114:115], v126, s[0:3], 0 offen offset:128
	v_lshlrev_b32_e32 v114, 1, v118
	v_cvt_f16_f32_e32 v105, v105
	v_cvt_f16_f32_e32 v98, v98
	buffer_store_dwordx2 v[116:117], v114, s[0:3], 0 offen
	s_waitcnt lgkmcnt(0)
	s_barrier
	ds_write_b16 v0, v102
	ds_write_b16 v0, v103 offset:128
	ds_write_b16 v0, v104 offset:256
	ds_write_b16 v0, v105 offset:384
	ds_write_b16 v0, v101 offset:448
	ds_write_b16 v0, v100 offset:320
	ds_write_b16 v0, v99 offset:192
	ds_write_b16 v0, v98 offset:64
	s_waitcnt lgkmcnt(0)
	s_barrier
	ds_read2_b64 v[98:101], v1 offset1:16
	s_mul_i32 s4, s21, 31
	v_add_u32_e32 v102, s4, v118
	v_lshlrev_b32_e32 v103, 1, v102
	v_add_u32_e32 v102, s21, v102
	s_waitcnt lgkmcnt(0)
	buffer_store_dwordx2 v[98:99], v103, s[0:3], 0 offen
	v_lshlrev_b32_e32 v98, 1, v102
	buffer_store_dwordx2 v[100:101], v98, s[0:3], 0 offen
	v_cvt_f16_f32_e32 v98, v110
	v_cvt_f16_f32_e32 v99, v111
	;; [unrolled: 1-line block ×4, first 2 shown]
	s_waitcnt lgkmcnt(0)
	s_barrier
	ds_write_b16 v0, v98
	ds_write_b16 v0, v99 offset:128
	ds_write_b16 v0, v100 offset:256
	;; [unrolled: 1-line block ×3, first 2 shown]
	v_cvt_f16_f32_e32 v98, v109
	v_cvt_f16_f32_e32 v99, v108
	;; [unrolled: 1-line block ×4, first 2 shown]
	ds_write_b16 v0, v98 offset:448
	ds_write_b16 v0, v99 offset:320
	;; [unrolled: 1-line block ×4, first 2 shown]
	s_waitcnt lgkmcnt(0)
	s_barrier
	ds_read2_b64 v[98:101], v1 offset1:16
	v_cvt_f16_f32_e32 v94, v94
	v_cvt_f16_f32_e32 v93, v93
	;; [unrolled: 1-line block ×4, first 2 shown]
	v_subrev_u32_e32 v102, 64, v102
	v_add_u32_e32 v103, 0xffffff80, v103
	v_cvt_f16_f32_e32 v96, v96
	v_cvt_f16_f32_e32 v91, v91
	s_waitcnt lgkmcnt(0)
	buffer_store_dwordx2 v[98:99], v103, s[0:3], 0 offen
	v_lshlrev_b32_e32 v98, 1, v102
	v_cvt_f16_f32_e32 v97, v97
	v_cvt_f16_f32_e32 v90, v90
	buffer_store_dwordx2 v[100:101], v98, s[0:3], 0 offen
	s_waitcnt lgkmcnt(0)
	s_barrier
	ds_write_b16 v0, v94
	ds_write_b16 v0, v95 offset:128
	ds_write_b16 v0, v96 offset:256
	;; [unrolled: 1-line block ×7, first 2 shown]
	s_waitcnt lgkmcnt(0)
	s_barrier
	ds_read2_b64 v[90:93], v1 offset1:16
	v_add_u32_e32 v94, s4, v102
	v_cvt_f16_f32_e32 v86, v86
	v_cvt_f16_f32_e32 v85, v85
	v_lshlrev_b32_e32 v95, 1, v94
	v_cvt_f16_f32_e32 v87, v87
	v_cvt_f16_f32_e32 v84, v84
	s_waitcnt lgkmcnt(0)
	buffer_store_dwordx2 v[90:91], v95, s[0:3], 0 offen
	v_add_u32_e32 v90, s21, v94
	v_cvt_f16_f32_e32 v88, v88
	v_cvt_f16_f32_e32 v83, v83
	v_lshlrev_b32_e32 v91, 1, v90
	v_cvt_f16_f32_e32 v89, v89
	v_cvt_f16_f32_e32 v82, v82
	buffer_store_dwordx2 v[92:93], v91, s[0:3], 0 offen
	s_waitcnt lgkmcnt(0)
	s_barrier
	ds_write_b16 v0, v86
	ds_write_b16 v0, v87 offset:128
	ds_write_b16 v0, v88 offset:256
	;; [unrolled: 1-line block ×7, first 2 shown]
	s_waitcnt lgkmcnt(0)
	s_barrier
	ds_read2_b64 v[82:85], v1 offset1:16
	v_cvt_f16_f32_e32 v70, v70
	v_cvt_f16_f32_e32 v69, v69
	;; [unrolled: 1-line block ×4, first 2 shown]
	v_add_u32_e32 v86, 64, v90
	v_cvt_f16_f32_e32 v72, v72
	v_cvt_f16_f32_e32 v67, v67
	s_waitcnt lgkmcnt(0)
	buffer_store_dwordx2 v[82:83], v95, s[0:3], 0 offen offset:128
	v_lshlrev_b32_e32 v82, 1, v86
	v_cvt_f16_f32_e32 v73, v73
	v_cvt_f16_f32_e32 v66, v66
	buffer_store_dwordx2 v[84:85], v82, s[0:3], 0 offen
	s_waitcnt lgkmcnt(0)
	s_barrier
	ds_write_b16 v0, v70
	ds_write_b16 v0, v71 offset:128
	ds_write_b16 v0, v72 offset:256
	;; [unrolled: 1-line block ×7, first 2 shown]
	s_waitcnt lgkmcnt(0)
	s_barrier
	ds_read2_b64 v[66:69], v1 offset1:16
	v_add_u32_e32 v70, s4, v86
	v_lshlrev_b32_e32 v71, 1, v70
	v_add_u32_e32 v70, s21, v70
	v_cvt_f16_f32_e32 v62, v62
	s_waitcnt lgkmcnt(0)
	buffer_store_dwordx2 v[66:67], v71, s[0:3], 0 offen
	v_lshlrev_b32_e32 v66, 1, v70
	buffer_store_dwordx2 v[68:69], v66, s[0:3], 0 offen
	v_cvt_f16_f32_e32 v66, v78
	v_cvt_f16_f32_e32 v67, v79
	;; [unrolled: 1-line block ×4, first 2 shown]
	s_waitcnt lgkmcnt(0)
	s_barrier
	ds_write_b16 v0, v66
	ds_write_b16 v0, v67 offset:128
	ds_write_b16 v0, v68 offset:256
	;; [unrolled: 1-line block ×3, first 2 shown]
	v_cvt_f16_f32_e32 v66, v77
	v_cvt_f16_f32_e32 v67, v76
	;; [unrolled: 1-line block ×4, first 2 shown]
	ds_write_b16 v0, v66 offset:448
	ds_write_b16 v0, v67 offset:320
	;; [unrolled: 1-line block ×4, first 2 shown]
	s_waitcnt lgkmcnt(0)
	s_barrier
	ds_read2_b64 v[66:69], v1 offset1:16
	v_cvt_f16_f32_e32 v61, v61
	v_cvt_f16_f32_e32 v63, v63
	v_cvt_f16_f32_e32 v60, v60
	v_subrev_u32_e32 v70, 64, v70
	v_add_u32_e32 v71, 0xffffff80, v71
	v_cvt_f16_f32_e32 v64, v64
	v_cvt_f16_f32_e32 v59, v59
	s_waitcnt lgkmcnt(0)
	buffer_store_dwordx2 v[66:67], v71, s[0:3], 0 offen
	v_lshlrev_b32_e32 v66, 1, v70
	v_cvt_f16_f32_e32 v65, v65
	v_cvt_f16_f32_e32 v58, v58
	buffer_store_dwordx2 v[68:69], v66, s[0:3], 0 offen
	s_waitcnt lgkmcnt(0)
	s_barrier
	ds_write_b16 v0, v62
	ds_write_b16 v0, v63 offset:128
	ds_write_b16 v0, v64 offset:256
	;; [unrolled: 1-line block ×7, first 2 shown]
	s_waitcnt lgkmcnt(0)
	s_barrier
	ds_read2_b64 v[58:61], v1 offset1:16
	v_add_u32_e32 v62, s4, v70
	v_cvt_f16_f32_e32 v54, v54
	v_cvt_f16_f32_e32 v53, v53
	v_lshlrev_b32_e32 v63, 1, v62
	v_cvt_f16_f32_e32 v55, v55
	v_cvt_f16_f32_e32 v52, v52
	s_waitcnt lgkmcnt(0)
	buffer_store_dwordx2 v[58:59], v63, s[0:3], 0 offen
	v_add_u32_e32 v58, s21, v62
	v_cvt_f16_f32_e32 v56, v56
	v_cvt_f16_f32_e32 v51, v51
	v_lshlrev_b32_e32 v59, 1, v58
	v_cvt_f16_f32_e32 v57, v57
	v_cvt_f16_f32_e32 v50, v50
	buffer_store_dwordx2 v[60:61], v59, s[0:3], 0 offen
	s_waitcnt lgkmcnt(0)
	s_barrier
	ds_write_b16 v0, v54
	ds_write_b16 v0, v55 offset:128
	ds_write_b16 v0, v56 offset:256
	;; [unrolled: 1-line block ×7, first 2 shown]
	s_waitcnt lgkmcnt(0)
	s_barrier
	ds_read2_b64 v[50:53], v1 offset1:16
	v_cvt_f16_f32_e32 v38, v38
	v_cvt_f16_f32_e32 v37, v37
	;; [unrolled: 1-line block ×4, first 2 shown]
	v_add_u32_e32 v54, 64, v58
	v_cvt_f16_f32_e32 v40, v40
	v_cvt_f16_f32_e32 v35, v35
	s_waitcnt lgkmcnt(0)
	buffer_store_dwordx2 v[50:51], v63, s[0:3], 0 offen offset:128
	v_lshlrev_b32_e32 v50, 1, v54
	v_cvt_f16_f32_e32 v41, v41
	v_cvt_f16_f32_e32 v34, v34
	buffer_store_dwordx2 v[52:53], v50, s[0:3], 0 offen
	s_waitcnt lgkmcnt(0)
	s_barrier
	ds_write_b16 v0, v38
	ds_write_b16 v0, v39 offset:128
	ds_write_b16 v0, v40 offset:256
	;; [unrolled: 1-line block ×7, first 2 shown]
	s_waitcnt lgkmcnt(0)
	s_barrier
	ds_read2_b64 v[34:37], v1 offset1:16
	v_add_u32_e32 v38, s4, v54
	v_lshlrev_b32_e32 v39, 1, v38
	v_add_u32_e32 v38, s21, v38
	v_cvt_f16_f32_e32 v30, v30
	s_waitcnt lgkmcnt(0)
	buffer_store_dwordx2 v[34:35], v39, s[0:3], 0 offen
	v_lshlrev_b32_e32 v34, 1, v38
	buffer_store_dwordx2 v[36:37], v34, s[0:3], 0 offen
	v_cvt_f16_f32_e32 v34, v46
	v_cvt_f16_f32_e32 v35, v47
	;; [unrolled: 1-line block ×4, first 2 shown]
	s_waitcnt lgkmcnt(0)
	s_barrier
	ds_write_b16 v0, v34
	ds_write_b16 v0, v35 offset:128
	ds_write_b16 v0, v36 offset:256
	;; [unrolled: 1-line block ×3, first 2 shown]
	v_cvt_f16_f32_e32 v34, v45
	v_cvt_f16_f32_e32 v35, v44
	;; [unrolled: 1-line block ×4, first 2 shown]
	ds_write_b16 v0, v34 offset:448
	ds_write_b16 v0, v35 offset:320
	;; [unrolled: 1-line block ×4, first 2 shown]
	s_waitcnt lgkmcnt(0)
	s_barrier
	ds_read2_b64 v[34:37], v1 offset1:16
	v_cvt_f16_f32_e32 v29, v29
	v_cvt_f16_f32_e32 v31, v31
	;; [unrolled: 1-line block ×3, first 2 shown]
	v_subrev_u32_e32 v38, 64, v38
	v_add_u32_e32 v39, 0xffffff80, v39
	v_cvt_f16_f32_e32 v32, v32
	v_cvt_f16_f32_e32 v27, v27
	s_waitcnt lgkmcnt(0)
	buffer_store_dwordx2 v[34:35], v39, s[0:3], 0 offen
	v_lshlrev_b32_e32 v34, 1, v38
	v_cvt_f16_f32_e32 v33, v33
	v_cvt_f16_f32_e32 v26, v26
	buffer_store_dwordx2 v[36:37], v34, s[0:3], 0 offen
	s_waitcnt lgkmcnt(0)
	s_barrier
	ds_write_b16 v0, v30
	ds_write_b16 v0, v31 offset:128
	ds_write_b16 v0, v32 offset:256
	;; [unrolled: 1-line block ×7, first 2 shown]
	s_waitcnt lgkmcnt(0)
	s_barrier
	ds_read2_b64 v[26:29], v1 offset1:16
	v_add_u32_e32 v30, s4, v38
	v_cvt_f16_f32_e32 v22, v22
	v_cvt_f16_f32_e32 v21, v21
	v_lshlrev_b32_e32 v31, 1, v30
	v_cvt_f16_f32_e32 v23, v23
	v_cvt_f16_f32_e32 v20, v20
	s_waitcnt lgkmcnt(0)
	buffer_store_dwordx2 v[26:27], v31, s[0:3], 0 offen
	v_add_u32_e32 v26, s21, v30
	v_cvt_f16_f32_e32 v24, v24
	v_cvt_f16_f32_e32 v19, v19
	v_lshlrev_b32_e32 v27, 1, v26
	v_cvt_f16_f32_e32 v25, v25
	v_cvt_f16_f32_e32 v18, v18
	buffer_store_dwordx2 v[28:29], v27, s[0:3], 0 offen
	s_waitcnt lgkmcnt(0)
	s_barrier
	ds_write_b16 v0, v22
	ds_write_b16 v0, v23 offset:128
	ds_write_b16 v0, v24 offset:256
	ds_write_b16 v0, v25 offset:384
	ds_write_b16 v0, v21 offset:448
	ds_write_b16 v0, v20 offset:320
	ds_write_b16 v0, v19 offset:192
	ds_write_b16 v0, v18 offset:64
	s_waitcnt lgkmcnt(0)
	s_barrier
	ds_read2_b64 v[18:21], v1 offset1:16
	v_cvt_f16_f32_e32 v6, v6
	v_cvt_f16_f32_e32 v5, v5
	;; [unrolled: 1-line block ×4, first 2 shown]
	v_add_u32_e32 v22, 64, v26
	v_cvt_f16_f32_e32 v8, v8
	v_cvt_f16_f32_e32 v3, v3
	s_waitcnt lgkmcnt(0)
	buffer_store_dwordx2 v[18:19], v31, s[0:3], 0 offen offset:128
	v_lshlrev_b32_e32 v18, 1, v22
	v_cvt_f16_f32_e32 v9, v9
	v_cvt_f16_f32_e32 v2, v2
	buffer_store_dwordx2 v[20:21], v18, s[0:3], 0 offen
	s_waitcnt lgkmcnt(0)
	s_barrier
	ds_write_b16 v0, v6
	ds_write_b16 v0, v7 offset:128
	ds_write_b16 v0, v8 offset:256
	ds_write_b16 v0, v9 offset:384
	ds_write_b16 v0, v5 offset:448
	ds_write_b16 v0, v4 offset:320
	ds_write_b16 v0, v3 offset:192
	ds_write_b16 v0, v2 offset:64
	s_waitcnt lgkmcnt(0)
	s_barrier
	ds_read2_b64 v[2:5], v1 offset1:16
	v_add_u32_e32 v6, s4, v22
	v_lshlrev_b32_e32 v7, 1, v6
	v_add_lshl_u32 v6, v6, s21, 1
	s_waitcnt lgkmcnt(0)
	buffer_store_dwordx2 v[2:3], v7, s[0:3], 0 offen
	v_cvt_f16_f32_e32 v2, v14
	v_cvt_f16_f32_e32 v3, v15
	buffer_store_dwordx2 v[4:5], v6, s[0:3], 0 offen
	v_cvt_f16_f32_e32 v4, v16
	v_cvt_f16_f32_e32 v5, v17
	s_waitcnt lgkmcnt(0)
	s_barrier
	ds_write_b16 v0, v2
	ds_write_b16 v0, v3 offset:128
	ds_write_b16 v0, v4 offset:256
	;; [unrolled: 1-line block ×3, first 2 shown]
	v_cvt_f16_f32_e32 v2, v13
	v_cvt_f16_f32_e32 v3, v12
	;; [unrolled: 1-line block ×4, first 2 shown]
	ds_write_b16 v0, v2 offset:448
	ds_write_b16 v0, v3 offset:320
	ds_write_b16 v0, v4 offset:192
	ds_write_b16 v0, v5 offset:64
	s_waitcnt lgkmcnt(0)
	s_barrier
	ds_read2_b64 v[0:3], v1 offset1:16
	v_add_u32_e32 v4, 0xffffff80, v7
	s_waitcnt lgkmcnt(0)
	buffer_store_dwordx2 v[0:1], v4, s[0:3], 0 offen
	v_add_u32_e32 v0, 0xffffff80, v6
	buffer_store_dwordx2 v[2:3], v0, s[0:3], 0 offen
	s_endpgm
	.section	.rodata,"a",@progbits
	.p2align	6, 0x0
	.amdhsa_kernel _ZN2ck27kernel_gemm_xdl_cshuffle_v1INS_43GridwiseGemm_k0mk1_k0nk1_mn_xdl_cshuffle_v1INS_13tensor_layout4gemm8RowMajorES4_S4_DF16_DF16_fDF16_DF16_NS_16tensor_operation12element_wise11PassThroughES7_S7_LNS5_6device18GemmSpecializationE0ELNS_25InMemoryDataOperationEnumE0ELi1ELi256ELi256ELi128ELi32ELi8ELi2ELi16ELi16ELi8ELi4ENS_8SequenceIJLi4ELi64ELi1EEEENSB_IJLi1ELi0ELi2EEEESD_Li2ELi8ELi8ELb0ELi1ENSB_IJLi8ELi32ELi1EEEENSB_IJLi0ELi2ELi1EEEESF_Li1ELi4ELi2ELb0ELi0ELi1ELi2ENSB_IJLi1ELi16ELi1ELi16EEEELi4ELNS_13LoopSchedulerE1ELNS_15PipelineVersionE0EDF16_DF16_EELb1EEEvNT_8ArgumentE
		.amdhsa_group_segment_fixed_size 24624
		.amdhsa_private_segment_fixed_size 0
		.amdhsa_kernarg_size 96
		.amdhsa_user_sgpr_count 2
		.amdhsa_user_sgpr_dispatch_ptr 0
		.amdhsa_user_sgpr_queue_ptr 0
		.amdhsa_user_sgpr_kernarg_segment_ptr 1
		.amdhsa_user_sgpr_dispatch_id 0
		.amdhsa_user_sgpr_kernarg_preload_length 0
		.amdhsa_user_sgpr_kernarg_preload_offset 0
		.amdhsa_user_sgpr_private_segment_size 0
		.amdhsa_uses_dynamic_stack 0
		.amdhsa_enable_private_segment 0
		.amdhsa_system_sgpr_workgroup_id_x 1
		.amdhsa_system_sgpr_workgroup_id_y 0
		.amdhsa_system_sgpr_workgroup_id_z 0
		.amdhsa_system_sgpr_workgroup_info 0
		.amdhsa_system_vgpr_workitem_id 0
		.amdhsa_next_free_vgpr 218
		.amdhsa_next_free_sgpr 91
		.amdhsa_accum_offset 220
		.amdhsa_reserve_vcc 0
		.amdhsa_float_round_mode_32 0
		.amdhsa_float_round_mode_16_64 0
		.amdhsa_float_denorm_mode_32 3
		.amdhsa_float_denorm_mode_16_64 3
		.amdhsa_dx10_clamp 1
		.amdhsa_ieee_mode 1
		.amdhsa_fp16_overflow 0
		.amdhsa_tg_split 0
		.amdhsa_exception_fp_ieee_invalid_op 0
		.amdhsa_exception_fp_denorm_src 0
		.amdhsa_exception_fp_ieee_div_zero 0
		.amdhsa_exception_fp_ieee_overflow 0
		.amdhsa_exception_fp_ieee_underflow 0
		.amdhsa_exception_fp_ieee_inexact 0
		.amdhsa_exception_int_div_zero 0
	.end_amdhsa_kernel
	.section	.text._ZN2ck27kernel_gemm_xdl_cshuffle_v1INS_43GridwiseGemm_k0mk1_k0nk1_mn_xdl_cshuffle_v1INS_13tensor_layout4gemm8RowMajorES4_S4_DF16_DF16_fDF16_DF16_NS_16tensor_operation12element_wise11PassThroughES7_S7_LNS5_6device18GemmSpecializationE0ELNS_25InMemoryDataOperationEnumE0ELi1ELi256ELi256ELi128ELi32ELi8ELi2ELi16ELi16ELi8ELi4ENS_8SequenceIJLi4ELi64ELi1EEEENSB_IJLi1ELi0ELi2EEEESD_Li2ELi8ELi8ELb0ELi1ENSB_IJLi8ELi32ELi1EEEENSB_IJLi0ELi2ELi1EEEESF_Li1ELi4ELi2ELb0ELi0ELi1ELi2ENSB_IJLi1ELi16ELi1ELi16EEEELi4ELNS_13LoopSchedulerE1ELNS_15PipelineVersionE0EDF16_DF16_EELb1EEEvNT_8ArgumentE,"axG",@progbits,_ZN2ck27kernel_gemm_xdl_cshuffle_v1INS_43GridwiseGemm_k0mk1_k0nk1_mn_xdl_cshuffle_v1INS_13tensor_layout4gemm8RowMajorES4_S4_DF16_DF16_fDF16_DF16_NS_16tensor_operation12element_wise11PassThroughES7_S7_LNS5_6device18GemmSpecializationE0ELNS_25InMemoryDataOperationEnumE0ELi1ELi256ELi256ELi128ELi32ELi8ELi2ELi16ELi16ELi8ELi4ENS_8SequenceIJLi4ELi64ELi1EEEENSB_IJLi1ELi0ELi2EEEESD_Li2ELi8ELi8ELb0ELi1ENSB_IJLi8ELi32ELi1EEEENSB_IJLi0ELi2ELi1EEEESF_Li1ELi4ELi2ELb0ELi0ELi1ELi2ENSB_IJLi1ELi16ELi1ELi16EEEELi4ELNS_13LoopSchedulerE1ELNS_15PipelineVersionE0EDF16_DF16_EELb1EEEvNT_8ArgumentE,comdat
.Lfunc_end1:
	.size	_ZN2ck27kernel_gemm_xdl_cshuffle_v1INS_43GridwiseGemm_k0mk1_k0nk1_mn_xdl_cshuffle_v1INS_13tensor_layout4gemm8RowMajorES4_S4_DF16_DF16_fDF16_DF16_NS_16tensor_operation12element_wise11PassThroughES7_S7_LNS5_6device18GemmSpecializationE0ELNS_25InMemoryDataOperationEnumE0ELi1ELi256ELi256ELi128ELi32ELi8ELi2ELi16ELi16ELi8ELi4ENS_8SequenceIJLi4ELi64ELi1EEEENSB_IJLi1ELi0ELi2EEEESD_Li2ELi8ELi8ELb0ELi1ENSB_IJLi8ELi32ELi1EEEENSB_IJLi0ELi2ELi1EEEESF_Li1ELi4ELi2ELb0ELi0ELi1ELi2ENSB_IJLi1ELi16ELi1ELi16EEEELi4ELNS_13LoopSchedulerE1ELNS_15PipelineVersionE0EDF16_DF16_EELb1EEEvNT_8ArgumentE, .Lfunc_end1-_ZN2ck27kernel_gemm_xdl_cshuffle_v1INS_43GridwiseGemm_k0mk1_k0nk1_mn_xdl_cshuffle_v1INS_13tensor_layout4gemm8RowMajorES4_S4_DF16_DF16_fDF16_DF16_NS_16tensor_operation12element_wise11PassThroughES7_S7_LNS5_6device18GemmSpecializationE0ELNS_25InMemoryDataOperationEnumE0ELi1ELi256ELi256ELi128ELi32ELi8ELi2ELi16ELi16ELi8ELi4ENS_8SequenceIJLi4ELi64ELi1EEEENSB_IJLi1ELi0ELi2EEEESD_Li2ELi8ELi8ELb0ELi1ENSB_IJLi8ELi32ELi1EEEENSB_IJLi0ELi2ELi1EEEESF_Li1ELi4ELi2ELb0ELi0ELi1ELi2ENSB_IJLi1ELi16ELi1ELi16EEEELi4ELNS_13LoopSchedulerE1ELNS_15PipelineVersionE0EDF16_DF16_EELb1EEEvNT_8ArgumentE
                                        ; -- End function
	.set _ZN2ck27kernel_gemm_xdl_cshuffle_v1INS_43GridwiseGemm_k0mk1_k0nk1_mn_xdl_cshuffle_v1INS_13tensor_layout4gemm8RowMajorES4_S4_DF16_DF16_fDF16_DF16_NS_16tensor_operation12element_wise11PassThroughES7_S7_LNS5_6device18GemmSpecializationE0ELNS_25InMemoryDataOperationEnumE0ELi1ELi256ELi256ELi128ELi32ELi8ELi2ELi16ELi16ELi8ELi4ENS_8SequenceIJLi4ELi64ELi1EEEENSB_IJLi1ELi0ELi2EEEESD_Li2ELi8ELi8ELb0ELi1ENSB_IJLi8ELi32ELi1EEEENSB_IJLi0ELi2ELi1EEEESF_Li1ELi4ELi2ELb0ELi0ELi1ELi2ENSB_IJLi1ELi16ELi1ELi16EEEELi4ELNS_13LoopSchedulerE1ELNS_15PipelineVersionE0EDF16_DF16_EELb1EEEvNT_8ArgumentE.num_vgpr, 218
	.set _ZN2ck27kernel_gemm_xdl_cshuffle_v1INS_43GridwiseGemm_k0mk1_k0nk1_mn_xdl_cshuffle_v1INS_13tensor_layout4gemm8RowMajorES4_S4_DF16_DF16_fDF16_DF16_NS_16tensor_operation12element_wise11PassThroughES7_S7_LNS5_6device18GemmSpecializationE0ELNS_25InMemoryDataOperationEnumE0ELi1ELi256ELi256ELi128ELi32ELi8ELi2ELi16ELi16ELi8ELi4ENS_8SequenceIJLi4ELi64ELi1EEEENSB_IJLi1ELi0ELi2EEEESD_Li2ELi8ELi8ELb0ELi1ENSB_IJLi8ELi32ELi1EEEENSB_IJLi0ELi2ELi1EEEESF_Li1ELi4ELi2ELb0ELi0ELi1ELi2ENSB_IJLi1ELi16ELi1ELi16EEEELi4ELNS_13LoopSchedulerE1ELNS_15PipelineVersionE0EDF16_DF16_EELb1EEEvNT_8ArgumentE.num_agpr, 0
	.set _ZN2ck27kernel_gemm_xdl_cshuffle_v1INS_43GridwiseGemm_k0mk1_k0nk1_mn_xdl_cshuffle_v1INS_13tensor_layout4gemm8RowMajorES4_S4_DF16_DF16_fDF16_DF16_NS_16tensor_operation12element_wise11PassThroughES7_S7_LNS5_6device18GemmSpecializationE0ELNS_25InMemoryDataOperationEnumE0ELi1ELi256ELi256ELi128ELi32ELi8ELi2ELi16ELi16ELi8ELi4ENS_8SequenceIJLi4ELi64ELi1EEEENSB_IJLi1ELi0ELi2EEEESD_Li2ELi8ELi8ELb0ELi1ENSB_IJLi8ELi32ELi1EEEENSB_IJLi0ELi2ELi1EEEESF_Li1ELi4ELi2ELb0ELi0ELi1ELi2ENSB_IJLi1ELi16ELi1ELi16EEEELi4ELNS_13LoopSchedulerE1ELNS_15PipelineVersionE0EDF16_DF16_EELb1EEEvNT_8ArgumentE.numbered_sgpr, 27
	.set _ZN2ck27kernel_gemm_xdl_cshuffle_v1INS_43GridwiseGemm_k0mk1_k0nk1_mn_xdl_cshuffle_v1INS_13tensor_layout4gemm8RowMajorES4_S4_DF16_DF16_fDF16_DF16_NS_16tensor_operation12element_wise11PassThroughES7_S7_LNS5_6device18GemmSpecializationE0ELNS_25InMemoryDataOperationEnumE0ELi1ELi256ELi256ELi128ELi32ELi8ELi2ELi16ELi16ELi8ELi4ENS_8SequenceIJLi4ELi64ELi1EEEENSB_IJLi1ELi0ELi2EEEESD_Li2ELi8ELi8ELb0ELi1ENSB_IJLi8ELi32ELi1EEEENSB_IJLi0ELi2ELi1EEEESF_Li1ELi4ELi2ELb0ELi0ELi1ELi2ENSB_IJLi1ELi16ELi1ELi16EEEELi4ELNS_13LoopSchedulerE1ELNS_15PipelineVersionE0EDF16_DF16_EELb1EEEvNT_8ArgumentE.num_named_barrier, 0
	.set _ZN2ck27kernel_gemm_xdl_cshuffle_v1INS_43GridwiseGemm_k0mk1_k0nk1_mn_xdl_cshuffle_v1INS_13tensor_layout4gemm8RowMajorES4_S4_DF16_DF16_fDF16_DF16_NS_16tensor_operation12element_wise11PassThroughES7_S7_LNS5_6device18GemmSpecializationE0ELNS_25InMemoryDataOperationEnumE0ELi1ELi256ELi256ELi128ELi32ELi8ELi2ELi16ELi16ELi8ELi4ENS_8SequenceIJLi4ELi64ELi1EEEENSB_IJLi1ELi0ELi2EEEESD_Li2ELi8ELi8ELb0ELi1ENSB_IJLi8ELi32ELi1EEEENSB_IJLi0ELi2ELi1EEEESF_Li1ELi4ELi2ELb0ELi0ELi1ELi2ENSB_IJLi1ELi16ELi1ELi16EEEELi4ELNS_13LoopSchedulerE1ELNS_15PipelineVersionE0EDF16_DF16_EELb1EEEvNT_8ArgumentE.private_seg_size, 0
	.set _ZN2ck27kernel_gemm_xdl_cshuffle_v1INS_43GridwiseGemm_k0mk1_k0nk1_mn_xdl_cshuffle_v1INS_13tensor_layout4gemm8RowMajorES4_S4_DF16_DF16_fDF16_DF16_NS_16tensor_operation12element_wise11PassThroughES7_S7_LNS5_6device18GemmSpecializationE0ELNS_25InMemoryDataOperationEnumE0ELi1ELi256ELi256ELi128ELi32ELi8ELi2ELi16ELi16ELi8ELi4ENS_8SequenceIJLi4ELi64ELi1EEEENSB_IJLi1ELi0ELi2EEEESD_Li2ELi8ELi8ELb0ELi1ENSB_IJLi8ELi32ELi1EEEENSB_IJLi0ELi2ELi1EEEESF_Li1ELi4ELi2ELb0ELi0ELi1ELi2ENSB_IJLi1ELi16ELi1ELi16EEEELi4ELNS_13LoopSchedulerE1ELNS_15PipelineVersionE0EDF16_DF16_EELb1EEEvNT_8ArgumentE.uses_vcc, 0
	.set _ZN2ck27kernel_gemm_xdl_cshuffle_v1INS_43GridwiseGemm_k0mk1_k0nk1_mn_xdl_cshuffle_v1INS_13tensor_layout4gemm8RowMajorES4_S4_DF16_DF16_fDF16_DF16_NS_16tensor_operation12element_wise11PassThroughES7_S7_LNS5_6device18GemmSpecializationE0ELNS_25InMemoryDataOperationEnumE0ELi1ELi256ELi256ELi128ELi32ELi8ELi2ELi16ELi16ELi8ELi4ENS_8SequenceIJLi4ELi64ELi1EEEENSB_IJLi1ELi0ELi2EEEESD_Li2ELi8ELi8ELb0ELi1ENSB_IJLi8ELi32ELi1EEEENSB_IJLi0ELi2ELi1EEEESF_Li1ELi4ELi2ELb0ELi0ELi1ELi2ENSB_IJLi1ELi16ELi1ELi16EEEELi4ELNS_13LoopSchedulerE1ELNS_15PipelineVersionE0EDF16_DF16_EELb1EEEvNT_8ArgumentE.uses_flat_scratch, 0
	.set _ZN2ck27kernel_gemm_xdl_cshuffle_v1INS_43GridwiseGemm_k0mk1_k0nk1_mn_xdl_cshuffle_v1INS_13tensor_layout4gemm8RowMajorES4_S4_DF16_DF16_fDF16_DF16_NS_16tensor_operation12element_wise11PassThroughES7_S7_LNS5_6device18GemmSpecializationE0ELNS_25InMemoryDataOperationEnumE0ELi1ELi256ELi256ELi128ELi32ELi8ELi2ELi16ELi16ELi8ELi4ENS_8SequenceIJLi4ELi64ELi1EEEENSB_IJLi1ELi0ELi2EEEESD_Li2ELi8ELi8ELb0ELi1ENSB_IJLi8ELi32ELi1EEEENSB_IJLi0ELi2ELi1EEEESF_Li1ELi4ELi2ELb0ELi0ELi1ELi2ENSB_IJLi1ELi16ELi1ELi16EEEELi4ELNS_13LoopSchedulerE1ELNS_15PipelineVersionE0EDF16_DF16_EELb1EEEvNT_8ArgumentE.has_dyn_sized_stack, 0
	.set _ZN2ck27kernel_gemm_xdl_cshuffle_v1INS_43GridwiseGemm_k0mk1_k0nk1_mn_xdl_cshuffle_v1INS_13tensor_layout4gemm8RowMajorES4_S4_DF16_DF16_fDF16_DF16_NS_16tensor_operation12element_wise11PassThroughES7_S7_LNS5_6device18GemmSpecializationE0ELNS_25InMemoryDataOperationEnumE0ELi1ELi256ELi256ELi128ELi32ELi8ELi2ELi16ELi16ELi8ELi4ENS_8SequenceIJLi4ELi64ELi1EEEENSB_IJLi1ELi0ELi2EEEESD_Li2ELi8ELi8ELb0ELi1ENSB_IJLi8ELi32ELi1EEEENSB_IJLi0ELi2ELi1EEEESF_Li1ELi4ELi2ELb0ELi0ELi1ELi2ENSB_IJLi1ELi16ELi1ELi16EEEELi4ELNS_13LoopSchedulerE1ELNS_15PipelineVersionE0EDF16_DF16_EELb1EEEvNT_8ArgumentE.has_recursion, 0
	.set _ZN2ck27kernel_gemm_xdl_cshuffle_v1INS_43GridwiseGemm_k0mk1_k0nk1_mn_xdl_cshuffle_v1INS_13tensor_layout4gemm8RowMajorES4_S4_DF16_DF16_fDF16_DF16_NS_16tensor_operation12element_wise11PassThroughES7_S7_LNS5_6device18GemmSpecializationE0ELNS_25InMemoryDataOperationEnumE0ELi1ELi256ELi256ELi128ELi32ELi8ELi2ELi16ELi16ELi8ELi4ENS_8SequenceIJLi4ELi64ELi1EEEENSB_IJLi1ELi0ELi2EEEESD_Li2ELi8ELi8ELb0ELi1ENSB_IJLi8ELi32ELi1EEEENSB_IJLi0ELi2ELi1EEEESF_Li1ELi4ELi2ELb0ELi0ELi1ELi2ENSB_IJLi1ELi16ELi1ELi16EEEELi4ELNS_13LoopSchedulerE1ELNS_15PipelineVersionE0EDF16_DF16_EELb1EEEvNT_8ArgumentE.has_indirect_call, 0
	.section	.AMDGPU.csdata,"",@progbits
; Kernel info:
; codeLenInByte = 5624
; TotalNumSgprs: 33
; NumVgprs: 218
; NumAgprs: 0
; TotalNumVgprs: 218
; ScratchSize: 0
; MemoryBound: 0
; FloatMode: 240
; IeeeMode: 1
; LDSByteSize: 24624 bytes/workgroup (compile time only)
; SGPRBlocks: 12
; VGPRBlocks: 27
; NumSGPRsForWavesPerEU: 97
; NumVGPRsForWavesPerEU: 218
; AccumOffset: 220
; Occupancy: 2
; WaveLimiterHint : 0
; COMPUTE_PGM_RSRC2:SCRATCH_EN: 0
; COMPUTE_PGM_RSRC2:USER_SGPR: 2
; COMPUTE_PGM_RSRC2:TRAP_HANDLER: 0
; COMPUTE_PGM_RSRC2:TGID_X_EN: 1
; COMPUTE_PGM_RSRC2:TGID_Y_EN: 0
; COMPUTE_PGM_RSRC2:TGID_Z_EN: 0
; COMPUTE_PGM_RSRC2:TIDIG_COMP_CNT: 0
; COMPUTE_PGM_RSRC3_GFX90A:ACCUM_OFFSET: 54
; COMPUTE_PGM_RSRC3_GFX90A:TG_SPLIT: 0
	.section	.text._ZN2ck27kernel_gemm_xdl_cshuffle_v1INS_43GridwiseGemm_k0mk1_k0nk1_mn_xdl_cshuffle_v1INS_13tensor_layout4gemm8RowMajorES4_S4_DF16_DF16_fDF16_DF16_NS_16tensor_operation12element_wise11PassThroughES7_S7_LNS5_6device18GemmSpecializationE0ELNS_25InMemoryDataOperationEnumE0ELi1ELi256ELi256ELi128ELi32ELi8ELi2ELi16ELi16ELi8ELi4ENS_8SequenceIJLi4ELi64ELi1EEEENSB_IJLi1ELi0ELi2EEEESD_Li2ELi8ELi8ELb0ELi1ENSB_IJLi8ELi32ELi1EEEENSB_IJLi0ELi2ELi1EEEESF_Li1ELi4ELi2ELb0ELi0ELi1ELi2ENSB_IJLi1ELi16ELi1ELi16EEEELi4ELNS_13LoopSchedulerE1ELNS_15PipelineVersionE0EDF16_DF16_EELb0EEEvNT_8ArgumentE,"axG",@progbits,_ZN2ck27kernel_gemm_xdl_cshuffle_v1INS_43GridwiseGemm_k0mk1_k0nk1_mn_xdl_cshuffle_v1INS_13tensor_layout4gemm8RowMajorES4_S4_DF16_DF16_fDF16_DF16_NS_16tensor_operation12element_wise11PassThroughES7_S7_LNS5_6device18GemmSpecializationE0ELNS_25InMemoryDataOperationEnumE0ELi1ELi256ELi256ELi128ELi32ELi8ELi2ELi16ELi16ELi8ELi4ENS_8SequenceIJLi4ELi64ELi1EEEENSB_IJLi1ELi0ELi2EEEESD_Li2ELi8ELi8ELb0ELi1ENSB_IJLi8ELi32ELi1EEEENSB_IJLi0ELi2ELi1EEEESF_Li1ELi4ELi2ELb0ELi0ELi1ELi2ENSB_IJLi1ELi16ELi1ELi16EEEELi4ELNS_13LoopSchedulerE1ELNS_15PipelineVersionE0EDF16_DF16_EELb0EEEvNT_8ArgumentE,comdat
	.protected	_ZN2ck27kernel_gemm_xdl_cshuffle_v1INS_43GridwiseGemm_k0mk1_k0nk1_mn_xdl_cshuffle_v1INS_13tensor_layout4gemm8RowMajorES4_S4_DF16_DF16_fDF16_DF16_NS_16tensor_operation12element_wise11PassThroughES7_S7_LNS5_6device18GemmSpecializationE0ELNS_25InMemoryDataOperationEnumE0ELi1ELi256ELi256ELi128ELi32ELi8ELi2ELi16ELi16ELi8ELi4ENS_8SequenceIJLi4ELi64ELi1EEEENSB_IJLi1ELi0ELi2EEEESD_Li2ELi8ELi8ELb0ELi1ENSB_IJLi8ELi32ELi1EEEENSB_IJLi0ELi2ELi1EEEESF_Li1ELi4ELi2ELb0ELi0ELi1ELi2ENSB_IJLi1ELi16ELi1ELi16EEEELi4ELNS_13LoopSchedulerE1ELNS_15PipelineVersionE0EDF16_DF16_EELb0EEEvNT_8ArgumentE ; -- Begin function _ZN2ck27kernel_gemm_xdl_cshuffle_v1INS_43GridwiseGemm_k0mk1_k0nk1_mn_xdl_cshuffle_v1INS_13tensor_layout4gemm8RowMajorES4_S4_DF16_DF16_fDF16_DF16_NS_16tensor_operation12element_wise11PassThroughES7_S7_LNS5_6device18GemmSpecializationE0ELNS_25InMemoryDataOperationEnumE0ELi1ELi256ELi256ELi128ELi32ELi8ELi2ELi16ELi16ELi8ELi4ENS_8SequenceIJLi4ELi64ELi1EEEENSB_IJLi1ELi0ELi2EEEESD_Li2ELi8ELi8ELb0ELi1ENSB_IJLi8ELi32ELi1EEEENSB_IJLi0ELi2ELi1EEEESF_Li1ELi4ELi2ELb0ELi0ELi1ELi2ENSB_IJLi1ELi16ELi1ELi16EEEELi4ELNS_13LoopSchedulerE1ELNS_15PipelineVersionE0EDF16_DF16_EELb0EEEvNT_8ArgumentE
	.globl	_ZN2ck27kernel_gemm_xdl_cshuffle_v1INS_43GridwiseGemm_k0mk1_k0nk1_mn_xdl_cshuffle_v1INS_13tensor_layout4gemm8RowMajorES4_S4_DF16_DF16_fDF16_DF16_NS_16tensor_operation12element_wise11PassThroughES7_S7_LNS5_6device18GemmSpecializationE0ELNS_25InMemoryDataOperationEnumE0ELi1ELi256ELi256ELi128ELi32ELi8ELi2ELi16ELi16ELi8ELi4ENS_8SequenceIJLi4ELi64ELi1EEEENSB_IJLi1ELi0ELi2EEEESD_Li2ELi8ELi8ELb0ELi1ENSB_IJLi8ELi32ELi1EEEENSB_IJLi0ELi2ELi1EEEESF_Li1ELi4ELi2ELb0ELi0ELi1ELi2ENSB_IJLi1ELi16ELi1ELi16EEEELi4ELNS_13LoopSchedulerE1ELNS_15PipelineVersionE0EDF16_DF16_EELb0EEEvNT_8ArgumentE
	.p2align	8
	.type	_ZN2ck27kernel_gemm_xdl_cshuffle_v1INS_43GridwiseGemm_k0mk1_k0nk1_mn_xdl_cshuffle_v1INS_13tensor_layout4gemm8RowMajorES4_S4_DF16_DF16_fDF16_DF16_NS_16tensor_operation12element_wise11PassThroughES7_S7_LNS5_6device18GemmSpecializationE0ELNS_25InMemoryDataOperationEnumE0ELi1ELi256ELi256ELi128ELi32ELi8ELi2ELi16ELi16ELi8ELi4ENS_8SequenceIJLi4ELi64ELi1EEEENSB_IJLi1ELi0ELi2EEEESD_Li2ELi8ELi8ELb0ELi1ENSB_IJLi8ELi32ELi1EEEENSB_IJLi0ELi2ELi1EEEESF_Li1ELi4ELi2ELb0ELi0ELi1ELi2ENSB_IJLi1ELi16ELi1ELi16EEEELi4ELNS_13LoopSchedulerE1ELNS_15PipelineVersionE0EDF16_DF16_EELb0EEEvNT_8ArgumentE,@function
_ZN2ck27kernel_gemm_xdl_cshuffle_v1INS_43GridwiseGemm_k0mk1_k0nk1_mn_xdl_cshuffle_v1INS_13tensor_layout4gemm8RowMajorES4_S4_DF16_DF16_fDF16_DF16_NS_16tensor_operation12element_wise11PassThroughES7_S7_LNS5_6device18GemmSpecializationE0ELNS_25InMemoryDataOperationEnumE0ELi1ELi256ELi256ELi128ELi32ELi8ELi2ELi16ELi16ELi8ELi4ENS_8SequenceIJLi4ELi64ELi1EEEENSB_IJLi1ELi0ELi2EEEESD_Li2ELi8ELi8ELb0ELi1ENSB_IJLi8ELi32ELi1EEEENSB_IJLi0ELi2ELi1EEEESF_Li1ELi4ELi2ELb0ELi0ELi1ELi2ENSB_IJLi1ELi16ELi1ELi16EEEELi4ELNS_13LoopSchedulerE1ELNS_15PipelineVersionE0EDF16_DF16_EELb0EEEvNT_8ArgumentE: ; @_ZN2ck27kernel_gemm_xdl_cshuffle_v1INS_43GridwiseGemm_k0mk1_k0nk1_mn_xdl_cshuffle_v1INS_13tensor_layout4gemm8RowMajorES4_S4_DF16_DF16_fDF16_DF16_NS_16tensor_operation12element_wise11PassThroughES7_S7_LNS5_6device18GemmSpecializationE0ELNS_25InMemoryDataOperationEnumE0ELi1ELi256ELi256ELi128ELi32ELi8ELi2ELi16ELi16ELi8ELi4ENS_8SequenceIJLi4ELi64ELi1EEEENSB_IJLi1ELi0ELi2EEEESD_Li2ELi8ELi8ELb0ELi1ENSB_IJLi8ELi32ELi1EEEENSB_IJLi0ELi2ELi1EEEESF_Li1ELi4ELi2ELb0ELi0ELi1ELi2ENSB_IJLi1ELi16ELi1ELi16EEEELi4ELNS_13LoopSchedulerE1ELNS_15PipelineVersionE0EDF16_DF16_EELb0EEEvNT_8ArgumentE
; %bb.0:
	s_load_dwordx4 s[8:11], s[0:1], 0x10
	s_load_dwordx2 s[16:17], s[0:1], 0x20
	s_ashr_i32 s18, s2, 31
	s_abs_i32 s2, s2
	v_lshrrev_b32_e32 v3, 4, v0
	s_waitcnt lgkmcnt(0)
	s_add_i32 s4, s8, 0xff
	s_ashr_i32 s5, s4, 31
	s_lshr_b32 s5, s5, 24
	s_add_i32 s3, s9, 0x7f
	s_add_i32 s4, s4, s5
	s_ashr_i32 s6, s4, 8
	s_ashr_i32 s4, s3, 31
	s_lshr_b32 s4, s4, 25
	s_add_i32 s3, s3, s4
	s_ashr_i32 s3, s3, 7
	s_mul_i32 s4, s3, s6
	s_abs_i32 s4, s4
	v_cvt_f32_u32_e32 v1, s4
	s_add_i32 s7, s8, -1
	s_sub_i32 s5, 0, s4
	s_add_i32 s19, s10, 0x7fffffff
	v_rcp_iflag_f32_e32 v1, v1
	v_and_b32_e32 v27, 14, v3
	v_and_b32_e32 v26, 3, v0
	v_lshlrev_b32_e32 v154, 2, v0
	v_mul_f32_e32 v1, 0x4f7ffffe, v1
	v_cvt_u32_f32_e32 v1, v1
	v_mul_lo_u32 v3, v27, s16
	v_and_b32_e32 v28, 0x7c, v154
	v_lshlrev_b32_e32 v3, 1, v3
	v_readfirstlane_b32 s8, v1
	s_mul_i32 s5, s5, s8
	s_mul_hi_u32 s5, s8, s5
	s_add_i32 s8, s8, s5
	s_mul_hi_u32 s5, s2, s8
	s_mul_i32 s5, s5, s4
	s_sub_i32 s2, s2, s5
	s_sub_i32 s5, s2, s4
	s_cmp_ge_u32 s2, s4
	s_cselect_b32 s2, s5, s2
	s_sub_i32 s5, s2, s4
	s_cmp_ge_u32 s2, s4
	s_cselect_b32 s2, s5, s2
	s_abs_i32 s8, s3
	v_cvt_f32_u32_e32 v1, s8
	s_sub_i32 s20, 0, s8
	s_load_dwordx4 s[12:15], s[0:1], 0x48
	s_load_dwordx2 s[4:5], s[0:1], 0x58
	s_xor_b32 s1, s2, s18
	v_rcp_iflag_f32_e32 v1, v1
	s_sub_i32 s1, s1, s18
	s_abs_i32 s18, s1
	s_xor_b32 s2, s1, s3
	v_mul_f32_e32 v1, 0x4f7ffffe, v1
	v_cvt_u32_f32_e32 v1, v1
	s_ashr_i32 s2, s2, 31
	s_mul_i32 s0, s7, s11
	s_mul_i32 s19, s19, s16
	v_readfirstlane_b32 s21, v1
	s_mul_i32 s20, s20, s21
	s_mul_hi_u32 s20, s21, s20
	s_add_i32 s21, s21, s20
	s_mul_hi_u32 s20, s18, s21
	s_mul_i32 s21, s20, s8
	s_sub_i32 s18, s18, s21
	s_add_i32 s21, s20, 1
	s_sub_i32 s22, s18, s8
	s_cmp_ge_u32 s18, s8
	s_cselect_b32 s20, s21, s20
	s_cselect_b32 s18, s22, s18
	s_add_i32 s21, s20, 1
	s_cmp_ge_u32 s18, s8
	s_cselect_b32 s8, s21, s20
	s_xor_b32 s8, s8, s2
	s_sub_i32 s2, s8, s2
	s_lshr_b32 s8, s6, 29
	s_add_i32 s8, s6, s8
	s_and_b32 s8, s8, -8
	s_sub_i32 s6, s6, s8
	s_cmp_ge_i32 s2, s8
	s_cselect_b32 s8, s6, 8
	s_abs_i32 s18, s8
	v_cvt_f32_u32_e32 v1, s18
	s_mul_i32 s6, s2, s3
	s_sub_i32 s1, s1, s6
	s_ashr_i32 s6, s2, 31
	v_rcp_iflag_f32_e32 v1, v1
	s_lshr_b32 s6, s6, 29
	s_add_i32 s6, s2, s6
	s_and_b32 s20, s6, -8
	v_mul_f32_e32 v1, 0x4f7ffffe, v1
	v_cvt_u32_f32_e32 v1, v1
	s_sub_i32 s2, s2, s20
	s_sub_i32 s6, 0, s18
	s_mul_i32 s2, s2, s3
	v_readfirstlane_b32 s21, v1
	s_mul_i32 s6, s6, s21
	s_add_i32 s2, s2, s1
	s_mul_hi_u32 s6, s21, s6
	s_abs_i32 s3, s2
	s_add_i32 s21, s21, s6
	s_mul_hi_u32 s6, s3, s21
	s_mul_i32 s21, s6, s18
	s_xor_b32 s1, s2, s8
	s_sub_i32 s3, s3, s21
	s_ashr_i32 s1, s1, 31
	s_add_i32 s21, s6, 1
	s_sub_i32 s22, s3, s18
	s_cmp_ge_u32 s3, s18
	s_cselect_b32 s6, s21, s6
	s_cselect_b32 s3, s22, s3
	s_add_i32 s21, s6, 1
	s_cmp_ge_u32 s3, s18
	s_cselect_b32 s3, s21, s6
	s_xor_b32 s3, s3, s1
	s_sub_i32 s6, s3, s1
	s_mul_i32 s1, s6, s8
	s_sub_i32 s1, s2, s1
	s_add_i32 s8, s20, s1
	v_and_b32_e32 v1, 0xfc, v0
	v_lshl_or_b32 v2, s8, 8, v1
	v_mul_lo_u32 v2, v2, s11
	s_lshl_b32 s1, s6, 7
	v_lshl_add_u32 v2, v26, 3, v2
	s_add_i32 s0, s10, s0
	v_add3_u32 v22, v3, v28, s1
	s_lshl_b32 s2, s0, 1
	s_waitcnt lgkmcnt(0)
	s_and_b32 s1, s13, 0xffff
	s_mov_b32 s3, 0x20000
	s_mov_b32 s0, s12
	v_lshlrev_b32_e32 v10, 1, v2
	v_add_u32_e32 v11, s11, v2
	v_lshlrev_b32_e32 v12, 1, v11
	buffer_load_dwordx4 v[2:5], v10, s[0:3], 0 offen
	buffer_load_dwordx4 v[6:9], v12, s[0:3], 0 offen
	v_add_u32_e32 v10, s11, v11
	v_lshlrev_b32_e32 v18, 1, v10
	v_add_lshl_u32 v19, v10, s11, 1
	buffer_load_dwordx4 v[10:13], v18, s[0:3], 0 offen
	buffer_load_dwordx4 v[14:17], v19, s[0:3], 0 offen
	s_add_i32 s0, s9, s19
	v_add_u32_e32 v24, s16, v22
	s_lshl_b32 s10, s16, 1
	s_lshl_b32 s2, s0, 1
	s_and_b32 s1, s15, 0xffff
	s_mov_b32 s0, s14
	v_lshlrev_b32_e32 v23, 1, v22
	v_lshlrev_b32_e32 v25, 1, v24
	v_add_lshl_u32 v29, v24, s10, 1
	buffer_load_dwordx2 v[18:19], v23, s[0:3], 0 offen
	buffer_load_dwordx2 v[20:21], v25, s[0:3], 0 offen
	v_add_lshl_u32 v30, s10, v22, 1
	buffer_load_dwordx2 v[22:23], v29, s[0:3], 0 offen
	buffer_load_dwordx2 v[24:25], v30, s[0:3], 0 offen
	v_lshrrev_b32_e32 v29, 1, v0
	v_and_b32_e32 v31, 0x80, v0
	s_movk_i32 s0, 0x1010
	v_and_b32_e32 v155, 15, v0
	v_and_b32_e32 v156, 32, v29
	v_lshlrev_b32_e32 v1, 4, v1
	v_lshlrev_b32_e32 v29, 1, v31
	s_mov_b32 s1, 0x5040100
	s_mov_b32 s2, 0x7060302
	v_bfe_u32 v30, v0, 4, 2
	v_mad_u32_u24 v1, v26, s0, v1
	v_lshlrev_b32_e32 v26, 2, v28
	v_lshl_or_b32 v28, v155, 4, v29
	v_lshl_or_b32 v26, v27, 9, v26
	v_mad_u32_u24 v27, v30, s0, v28
	s_mul_i32 s7, s7, s17
	s_waitcnt vmcnt(7)
	ds_write_b128 v1, v[2:5]
	s_waitcnt vmcnt(6)
	ds_write_b128 v1, v[6:9] offset:16
	s_waitcnt vmcnt(5)
	ds_write_b128 v1, v[10:13] offset:32
	;; [unrolled: 2-line block ×3, first 2 shown]
	v_lshlrev_b32_e32 v1, 1, v156
	s_waitcnt vmcnt(2)
	v_perm_b32 v2, v20, v18, s1
	v_perm_b32 v3, v20, v18, s2
	;; [unrolled: 1-line block ×4, first 2 shown]
	s_waitcnt vmcnt(0)
	v_perm_b32 v6, v22, v24, s1
	v_perm_b32 v7, v22, v24, s2
	v_perm_b32 v8, v23, v25, s1
	v_perm_b32 v9, v23, v25, s2
	ds_write_b128 v26, v[6:9] offset:16944
	ds_write_b128 v26, v[2:5] offset:16432
	s_waitcnt lgkmcnt(0)
	s_barrier
	ds_read_b128 v[2:5], v27
	ds_read_b128 v[6:9], v27 offset:512
	ds_read_b128 v[10:13], v27 offset:1024
	;; [unrolled: 1-line block ×7, first 2 shown]
	v_lshlrev_b32_e32 v27, 7, v0
	v_lshlrev_b32_e32 v26, 2, v155
	v_and_b32_e32 v27, 0x1800, v27
	v_or3_b32 v1, v1, v26, v27
	v_add_u32_e32 v32, 0x4000, v1
	v_add_u32_e32 v1, 0x4400, v1
	ds_read2_b32 v[26:27], v32 offset0:12 offset1:44
	ds_read2_b32 v[98:99], v32 offset0:140 offset1:172
	;; [unrolled: 1-line block ×8, first 2 shown]
	; sched_barrier mask(0x00000000)
	;;#ASMSTART
	s_barrier
	;;#ASMEND
	; sched_barrier mask(0x00000000)
	s_waitcnt lgkmcnt(7)
	v_mov_b32_e32 v106, v26
	s_waitcnt lgkmcnt(6)
	v_mov_b32_e32 v107, v98
	;; [unrolled: 2-line block ×4, first 2 shown]
	s_nop 1
	v_mfma_f32_16x16x32_f16 v[110:113], v[2:5], v[106:109], 0
	; sched_barrier mask(0x00000000)
	s_setprio 1
	; sched_barrier mask(0x00000000)
	v_mov_b32_e32 v98, v27
	v_mov_b32_e32 v100, v29
	s_waitcnt lgkmcnt(3)
	v_mov_b32_e32 v118, v30
	s_waitcnt lgkmcnt(2)
	;; [unrolled: 2-line block ×4, first 2 shown]
	v_mov_b32_e32 v121, v104
	v_mov_b32_e32 v102, v31
	;; [unrolled: 1-line block ×3, first 2 shown]
	v_mfma_f32_16x16x32_f16 v[114:117], v[2:5], v[98:101], 0
	v_mfma_f32_16x16x32_f16 v[122:125], v[2:5], v[118:121], 0
	;; [unrolled: 1-line block ×30, first 2 shown]
	; sched_barrier mask(0x00000000)
	s_waitcnt lgkmcnt(0)
	s_barrier
	; sched_barrier mask(0x00000000)
	v_mfma_f32_16x16x32_f16 v[10:13], v[94:97], v[102:105], 0
	; sched_barrier mask(0x00000000)
	s_setprio 0
	; sched_barrier mask(0x00000000)
	v_lshrrev_b32_e32 v90, 2, v0
	v_cvt_f16_f32_e32 v1, v110
	v_lshrrev_b32_e32 v91, 3, v0
	v_and_b32_e32 v0, 12, v90
	v_cvt_f16_f32_e32 v92, v111
	v_and_or_b32 v0, v91, 16, v0
	v_cvt_f16_f32_e32 v93, v112
	v_lshlrev_b32_e32 v0, 7, v0
	v_lshlrev_b32_e32 v90, 1, v155
	v_cvt_f16_f32_e32 v94, v113
	v_or3_b32 v0, v156, v0, v90
	v_and_b32_e32 v99, 30, v91
	v_and_b32_e32 v100, 60, v154
	v_cvt_f16_f32_e32 v95, v117
	v_cvt_f16_f32_e32 v96, v116
	;; [unrolled: 1-line block ×4, first 2 shown]
	v_lshl_or_b32 v91, s8, 8, v99
	v_lshl_or_b32 v90, s6, 7, v100
	s_waitcnt lgkmcnt(0)
	s_barrier
	ds_write_b16 v0, v1
	ds_write_b16 v0, v92 offset:128
	ds_write_b16 v0, v93 offset:256
	;; [unrolled: 1-line block ×7, first 2 shown]
	v_lshlrev_b32_e32 v1, 1, v100
	v_mad_u64_u32 v[90:91], s[0:1], v91, s17, v[90:91]
	v_lshl_or_b32 v1, v99, 7, v1
	v_lshlrev_b32_e32 v94, 1, v90
	v_add_u32_e32 v95, s17, v90
	s_waitcnt lgkmcnt(0)
	s_barrier
	ds_read2_b64 v[90:93], v1 offset1:16
	s_add_i32 s0, s9, s7
	s_lshl_b32 s6, s0, 1
	s_and_b32 s5, s5, 0xffff
	s_mov_b32 s7, s3
	s_waitcnt lgkmcnt(0)
	buffer_store_dwordx2 v[90:91], v94, s[4:7], 0 offen
	v_lshlrev_b32_e32 v90, 1, v95
	buffer_store_dwordx2 v[92:93], v90, s[4:7], 0 offen
	v_cvt_f16_f32_e32 v90, v122
	v_cvt_f16_f32_e32 v91, v123
	;; [unrolled: 1-line block ×8, first 2 shown]
	s_waitcnt lgkmcnt(0)
	s_barrier
	ds_write_b16 v0, v90
	ds_write_b16 v0, v91 offset:128
	ds_write_b16 v0, v92 offset:256
	;; [unrolled: 1-line block ×7, first 2 shown]
	s_waitcnt lgkmcnt(0)
	s_barrier
	ds_read2_b64 v[90:93], v1 offset1:16
	v_cvt_f16_f32_e32 v96, v144
	v_cvt_f16_f32_e32 v97, v143
	;; [unrolled: 1-line block ×3, first 2 shown]
	s_mul_i32 s0, s17, 31
	s_waitcnt lgkmcnt(0)
	buffer_store_dwordx2 v[90:91], v94, s[4:7], 0 offen offset:128
	v_add_u32_e32 v94, 64, v95
	v_lshlrev_b32_e32 v90, 1, v94
	buffer_store_dwordx2 v[92:93], v90, s[4:7], 0 offen
	v_cvt_f16_f32_e32 v90, v138
	v_cvt_f16_f32_e32 v91, v139
	;; [unrolled: 1-line block ×5, first 2 shown]
	s_waitcnt lgkmcnt(0)
	s_barrier
	ds_write_b16 v0, v90
	ds_write_b16 v0, v91 offset:128
	ds_write_b16 v0, v92 offset:256
	;; [unrolled: 1-line block ×7, first 2 shown]
	s_waitcnt lgkmcnt(0)
	s_barrier
	ds_read2_b64 v[90:93], v1 offset1:16
	v_add_u32_e32 v94, s0, v94
	v_lshlrev_b32_e32 v95, 1, v94
	v_add_u32_e32 v94, s17, v94
	v_cvt_f16_f32_e32 v96, v137
	s_waitcnt lgkmcnt(0)
	buffer_store_dwordx2 v[90:91], v95, s[4:7], 0 offen
	v_lshlrev_b32_e32 v90, 1, v94
	buffer_store_dwordx2 v[92:93], v90, s[4:7], 0 offen
	v_cvt_f16_f32_e32 v90, v130
	v_cvt_f16_f32_e32 v91, v131
	;; [unrolled: 1-line block ×7, first 2 shown]
	s_waitcnt lgkmcnt(0)
	s_barrier
	ds_write_b16 v0, v90
	ds_write_b16 v0, v91 offset:128
	ds_write_b16 v0, v92 offset:256
	;; [unrolled: 1-line block ×7, first 2 shown]
	s_waitcnt lgkmcnt(0)
	s_barrier
	ds_read2_b64 v[90:93], v1 offset1:16
	v_add_u32_e32 v95, 0xffffff80, v95
	v_subrev_u32_e32 v94, 64, v94
	v_cvt_f16_f32_e32 v96, v152
	v_cvt_f16_f32_e32 v97, v151
	s_waitcnt lgkmcnt(0)
	buffer_store_dwordx2 v[90:91], v95, s[4:7], 0 offen
	v_lshlrev_b32_e32 v90, 1, v94
	buffer_store_dwordx2 v[92:93], v90, s[4:7], 0 offen
	v_cvt_f16_f32_e32 v90, v146
	v_cvt_f16_f32_e32 v91, v147
	;; [unrolled: 1-line block ×6, first 2 shown]
	s_waitcnt lgkmcnt(0)
	s_barrier
	ds_write_b16 v0, v90
	ds_write_b16 v0, v91 offset:128
	ds_write_b16 v0, v92 offset:256
	;; [unrolled: 1-line block ×7, first 2 shown]
	s_waitcnt lgkmcnt(0)
	s_barrier
	ds_read2_b64 v[90:93], v1 offset1:16
	v_add_u32_e32 v94, s0, v94
	v_cvt_f16_f32_e32 v86, v86
	v_lshlrev_b32_e32 v95, 1, v94
	v_cvt_f16_f32_e32 v87, v87
	s_waitcnt lgkmcnt(0)
	buffer_store_dwordx2 v[90:91], v95, s[4:7], 0 offen
	v_add_u32_e32 v90, s17, v94
	v_cvt_f16_f32_e32 v88, v88
	v_lshlrev_b32_e32 v91, 1, v90
	v_cvt_f16_f32_e32 v89, v89
	v_cvt_f16_f32_e32 v85, v85
	;; [unrolled: 1-line block ×5, first 2 shown]
	buffer_store_dwordx2 v[92:93], v91, s[4:7], 0 offen
	s_waitcnt lgkmcnt(0)
	s_barrier
	ds_write_b16 v0, v86
	ds_write_b16 v0, v87 offset:128
	ds_write_b16 v0, v88 offset:256
	;; [unrolled: 1-line block ×7, first 2 shown]
	s_waitcnt lgkmcnt(0)
	s_barrier
	ds_read2_b64 v[82:85], v1 offset1:16
	v_cvt_f16_f32_e32 v78, v78
	v_cvt_f16_f32_e32 v79, v79
	;; [unrolled: 1-line block ×4, first 2 shown]
	s_waitcnt lgkmcnt(0)
	buffer_store_dwordx2 v[82:83], v95, s[4:7], 0 offen offset:128
	v_add_u32_e32 v82, 64, v90
	v_lshlrev_b32_e32 v83, 1, v82
	v_cvt_f16_f32_e32 v77, v77
	v_cvt_f16_f32_e32 v76, v76
	;; [unrolled: 1-line block ×4, first 2 shown]
	buffer_store_dwordx2 v[84:85], v83, s[4:7], 0 offen
	s_waitcnt lgkmcnt(0)
	s_barrier
	ds_write_b16 v0, v78
	ds_write_b16 v0, v79 offset:128
	ds_write_b16 v0, v80 offset:256
	;; [unrolled: 1-line block ×7, first 2 shown]
	s_waitcnt lgkmcnt(0)
	s_barrier
	ds_read2_b64 v[74:77], v1 offset1:16
	v_add_u32_e32 v78, s0, v82
	v_cvt_f16_f32_e32 v70, v70
	v_cvt_f16_f32_e32 v69, v69
	v_lshlrev_b32_e32 v79, 1, v78
	v_cvt_f16_f32_e32 v71, v71
	v_cvt_f16_f32_e32 v68, v68
	s_waitcnt lgkmcnt(0)
	buffer_store_dwordx2 v[74:75], v79, s[4:7], 0 offen
	v_add_u32_e32 v74, s17, v78
	v_cvt_f16_f32_e32 v72, v72
	v_cvt_f16_f32_e32 v67, v67
	v_lshlrev_b32_e32 v75, 1, v74
	v_cvt_f16_f32_e32 v73, v73
	v_cvt_f16_f32_e32 v66, v66
	buffer_store_dwordx2 v[76:77], v75, s[4:7], 0 offen
	s_waitcnt lgkmcnt(0)
	s_barrier
	ds_write_b16 v0, v70
	ds_write_b16 v0, v71 offset:128
	ds_write_b16 v0, v72 offset:256
	;; [unrolled: 1-line block ×7, first 2 shown]
	s_waitcnt lgkmcnt(0)
	s_barrier
	ds_read2_b64 v[66:69], v1 offset1:16
	v_cvt_f16_f32_e32 v62, v62
	v_cvt_f16_f32_e32 v61, v61
	v_cvt_f16_f32_e32 v63, v63
	v_cvt_f16_f32_e32 v60, v60
	v_subrev_u32_e32 v70, 64, v74
	v_add_u32_e32 v71, 0xffffff80, v79
	v_cvt_f16_f32_e32 v64, v64
	v_cvt_f16_f32_e32 v59, v59
	s_waitcnt lgkmcnt(0)
	buffer_store_dwordx2 v[66:67], v71, s[4:7], 0 offen
	v_lshlrev_b32_e32 v66, 1, v70
	v_cvt_f16_f32_e32 v65, v65
	v_cvt_f16_f32_e32 v58, v58
	buffer_store_dwordx2 v[68:69], v66, s[4:7], 0 offen
	s_waitcnt lgkmcnt(0)
	s_barrier
	ds_write_b16 v0, v62
	ds_write_b16 v0, v63 offset:128
	ds_write_b16 v0, v64 offset:256
	ds_write_b16 v0, v65 offset:384
	ds_write_b16 v0, v61 offset:448
	ds_write_b16 v0, v60 offset:320
	ds_write_b16 v0, v59 offset:192
	ds_write_b16 v0, v58 offset:64
	s_waitcnt lgkmcnt(0)
	s_barrier
	ds_read2_b64 v[58:61], v1 offset1:16
	v_add_u32_e32 v62, s0, v70
	v_cvt_f16_f32_e32 v54, v54
	v_cvt_f16_f32_e32 v53, v53
	v_lshlrev_b32_e32 v63, 1, v62
	v_cvt_f16_f32_e32 v55, v55
	v_cvt_f16_f32_e32 v52, v52
	s_waitcnt lgkmcnt(0)
	buffer_store_dwordx2 v[58:59], v63, s[4:7], 0 offen
	v_add_u32_e32 v58, s17, v62
	v_cvt_f16_f32_e32 v56, v56
	v_cvt_f16_f32_e32 v51, v51
	v_lshlrev_b32_e32 v59, 1, v58
	v_cvt_f16_f32_e32 v57, v57
	v_cvt_f16_f32_e32 v50, v50
	buffer_store_dwordx2 v[60:61], v59, s[4:7], 0 offen
	s_waitcnt lgkmcnt(0)
	s_barrier
	ds_write_b16 v0, v54
	ds_write_b16 v0, v55 offset:128
	ds_write_b16 v0, v56 offset:256
	;; [unrolled: 1-line block ×7, first 2 shown]
	s_waitcnt lgkmcnt(0)
	s_barrier
	ds_read2_b64 v[50:53], v1 offset1:16
	v_cvt_f16_f32_e32 v46, v46
	v_cvt_f16_f32_e32 v45, v45
	;; [unrolled: 1-line block ×4, first 2 shown]
	v_add_u32_e32 v54, 64, v58
	v_cvt_f16_f32_e32 v48, v48
	v_cvt_f16_f32_e32 v43, v43
	s_waitcnt lgkmcnt(0)
	buffer_store_dwordx2 v[50:51], v63, s[4:7], 0 offen offset:128
	v_lshlrev_b32_e32 v50, 1, v54
	v_cvt_f16_f32_e32 v49, v49
	v_cvt_f16_f32_e32 v42, v42
	buffer_store_dwordx2 v[52:53], v50, s[4:7], 0 offen
	s_waitcnt lgkmcnt(0)
	s_barrier
	ds_write_b16 v0, v46
	ds_write_b16 v0, v47 offset:128
	ds_write_b16 v0, v48 offset:256
	;; [unrolled: 1-line block ×7, first 2 shown]
	s_waitcnt lgkmcnt(0)
	s_barrier
	ds_read2_b64 v[42:45], v1 offset1:16
	v_add_u32_e32 v46, s0, v54
	v_cvt_f16_f32_e32 v38, v38
	v_cvt_f16_f32_e32 v37, v37
	v_lshlrev_b32_e32 v47, 1, v46
	v_cvt_f16_f32_e32 v39, v39
	v_cvt_f16_f32_e32 v36, v36
	s_waitcnt lgkmcnt(0)
	buffer_store_dwordx2 v[42:43], v47, s[4:7], 0 offen
	v_add_u32_e32 v42, s17, v46
	v_cvt_f16_f32_e32 v40, v40
	v_cvt_f16_f32_e32 v35, v35
	v_lshlrev_b32_e32 v43, 1, v42
	v_cvt_f16_f32_e32 v41, v41
	v_cvt_f16_f32_e32 v34, v34
	buffer_store_dwordx2 v[44:45], v43, s[4:7], 0 offen
	s_waitcnt lgkmcnt(0)
	s_barrier
	ds_write_b16 v0, v38
	ds_write_b16 v0, v39 offset:128
	ds_write_b16 v0, v40 offset:256
	;; [unrolled: 1-line block ×7, first 2 shown]
	s_waitcnt lgkmcnt(0)
	s_barrier
	ds_read2_b64 v[34:37], v1 offset1:16
	v_cvt_f16_f32_e32 v30, v30
	v_cvt_f16_f32_e32 v29, v29
	;; [unrolled: 1-line block ×4, first 2 shown]
	v_subrev_u32_e32 v38, 64, v42
	v_add_u32_e32 v39, 0xffffff80, v47
	v_cvt_f16_f32_e32 v32, v32
	v_cvt_f16_f32_e32 v27, v27
	s_waitcnt lgkmcnt(0)
	buffer_store_dwordx2 v[34:35], v39, s[4:7], 0 offen
	v_lshlrev_b32_e32 v34, 1, v38
	v_cvt_f16_f32_e32 v33, v33
	v_cvt_f16_f32_e32 v26, v26
	buffer_store_dwordx2 v[36:37], v34, s[4:7], 0 offen
	s_waitcnt lgkmcnt(0)
	s_barrier
	ds_write_b16 v0, v30
	ds_write_b16 v0, v31 offset:128
	ds_write_b16 v0, v32 offset:256
	;; [unrolled: 1-line block ×7, first 2 shown]
	s_waitcnt lgkmcnt(0)
	s_barrier
	ds_read2_b64 v[26:29], v1 offset1:16
	v_add_u32_e32 v30, s0, v38
	v_cvt_f16_f32_e32 v22, v22
	v_cvt_f16_f32_e32 v21, v21
	v_lshlrev_b32_e32 v31, 1, v30
	v_cvt_f16_f32_e32 v23, v23
	v_cvt_f16_f32_e32 v20, v20
	s_waitcnt lgkmcnt(0)
	buffer_store_dwordx2 v[26:27], v31, s[4:7], 0 offen
	v_add_u32_e32 v26, s17, v30
	v_cvt_f16_f32_e32 v24, v24
	v_cvt_f16_f32_e32 v19, v19
	v_lshlrev_b32_e32 v27, 1, v26
	v_cvt_f16_f32_e32 v25, v25
	v_cvt_f16_f32_e32 v18, v18
	buffer_store_dwordx2 v[28:29], v27, s[4:7], 0 offen
	s_waitcnt lgkmcnt(0)
	s_barrier
	ds_write_b16 v0, v22
	ds_write_b16 v0, v23 offset:128
	ds_write_b16 v0, v24 offset:256
	;; [unrolled: 1-line block ×7, first 2 shown]
	s_waitcnt lgkmcnt(0)
	s_barrier
	ds_read2_b64 v[18:21], v1 offset1:16
	v_cvt_f16_f32_e32 v14, v14
	v_cvt_f16_f32_e32 v13, v13
	;; [unrolled: 1-line block ×4, first 2 shown]
	v_add_u32_e32 v22, 64, v26
	v_cvt_f16_f32_e32 v16, v16
	v_cvt_f16_f32_e32 v11, v11
	s_waitcnt lgkmcnt(0)
	buffer_store_dwordx2 v[18:19], v31, s[4:7], 0 offen offset:128
	v_lshlrev_b32_e32 v18, 1, v22
	v_cvt_f16_f32_e32 v17, v17
	v_cvt_f16_f32_e32 v10, v10
	buffer_store_dwordx2 v[20:21], v18, s[4:7], 0 offen
	s_waitcnt lgkmcnt(0)
	s_barrier
	ds_write_b16 v0, v14
	ds_write_b16 v0, v15 offset:128
	ds_write_b16 v0, v16 offset:256
	;; [unrolled: 1-line block ×7, first 2 shown]
	s_waitcnt lgkmcnt(0)
	s_barrier
	ds_read2_b64 v[10:13], v1 offset1:16
	v_cvt_f16_f32_e32 v6, v6
	v_cvt_f16_f32_e32 v5, v5
	v_add_u32_e32 v14, s0, v22
	v_cvt_f16_f32_e32 v7, v7
	v_cvt_f16_f32_e32 v4, v4
	v_lshlrev_b32_e32 v15, 1, v14
	v_cvt_f16_f32_e32 v8, v8
	v_cvt_f16_f32_e32 v3, v3
	s_waitcnt lgkmcnt(0)
	buffer_store_dwordx2 v[10:11], v15, s[4:7], 0 offen
	v_add_lshl_u32 v10, v14, s17, 1
	v_cvt_f16_f32_e32 v9, v9
	v_cvt_f16_f32_e32 v2, v2
	buffer_store_dwordx2 v[12:13], v10, s[4:7], 0 offen
	s_waitcnt lgkmcnt(0)
	s_barrier
	ds_write_b16 v0, v6
	ds_write_b16 v0, v7 offset:128
	ds_write_b16 v0, v8 offset:256
	;; [unrolled: 1-line block ×7, first 2 shown]
	s_waitcnt lgkmcnt(0)
	s_barrier
	ds_read2_b64 v[0:3], v1 offset1:16
	v_add_u32_e32 v4, 0xffffff80, v15
	s_waitcnt lgkmcnt(0)
	buffer_store_dwordx2 v[0:1], v4, s[4:7], 0 offen
	v_add_u32_e32 v0, 0xffffff80, v10
	buffer_store_dwordx2 v[2:3], v0, s[4:7], 0 offen
	s_endpgm
	.section	.rodata,"a",@progbits
	.p2align	6, 0x0
	.amdhsa_kernel _ZN2ck27kernel_gemm_xdl_cshuffle_v1INS_43GridwiseGemm_k0mk1_k0nk1_mn_xdl_cshuffle_v1INS_13tensor_layout4gemm8RowMajorES4_S4_DF16_DF16_fDF16_DF16_NS_16tensor_operation12element_wise11PassThroughES7_S7_LNS5_6device18GemmSpecializationE0ELNS_25InMemoryDataOperationEnumE0ELi1ELi256ELi256ELi128ELi32ELi8ELi2ELi16ELi16ELi8ELi4ENS_8SequenceIJLi4ELi64ELi1EEEENSB_IJLi1ELi0ELi2EEEESD_Li2ELi8ELi8ELb0ELi1ENSB_IJLi8ELi32ELi1EEEENSB_IJLi0ELi2ELi1EEEESF_Li1ELi4ELi2ELb0ELi0ELi1ELi2ENSB_IJLi1ELi16ELi1ELi16EEEELi4ELNS_13LoopSchedulerE1ELNS_15PipelineVersionE0EDF16_DF16_EELb0EEEvNT_8ArgumentE
		.amdhsa_group_segment_fixed_size 24624
		.amdhsa_private_segment_fixed_size 0
		.amdhsa_kernarg_size 96
		.amdhsa_user_sgpr_count 2
		.amdhsa_user_sgpr_dispatch_ptr 0
		.amdhsa_user_sgpr_queue_ptr 0
		.amdhsa_user_sgpr_kernarg_segment_ptr 1
		.amdhsa_user_sgpr_dispatch_id 0
		.amdhsa_user_sgpr_kernarg_preload_length 0
		.amdhsa_user_sgpr_kernarg_preload_offset 0
		.amdhsa_user_sgpr_private_segment_size 0
		.amdhsa_uses_dynamic_stack 0
		.amdhsa_enable_private_segment 0
		.amdhsa_system_sgpr_workgroup_id_x 1
		.amdhsa_system_sgpr_workgroup_id_y 0
		.amdhsa_system_sgpr_workgroup_id_z 0
		.amdhsa_system_sgpr_workgroup_info 0
		.amdhsa_system_vgpr_workitem_id 0
		.amdhsa_next_free_vgpr 157
		.amdhsa_next_free_sgpr 91
		.amdhsa_accum_offset 160
		.amdhsa_reserve_vcc 0
		.amdhsa_float_round_mode_32 0
		.amdhsa_float_round_mode_16_64 0
		.amdhsa_float_denorm_mode_32 3
		.amdhsa_float_denorm_mode_16_64 3
		.amdhsa_dx10_clamp 1
		.amdhsa_ieee_mode 1
		.amdhsa_fp16_overflow 0
		.amdhsa_tg_split 0
		.amdhsa_exception_fp_ieee_invalid_op 0
		.amdhsa_exception_fp_denorm_src 0
		.amdhsa_exception_fp_ieee_div_zero 0
		.amdhsa_exception_fp_ieee_overflow 0
		.amdhsa_exception_fp_ieee_underflow 0
		.amdhsa_exception_fp_ieee_inexact 0
		.amdhsa_exception_int_div_zero 0
	.end_amdhsa_kernel
	.section	.text._ZN2ck27kernel_gemm_xdl_cshuffle_v1INS_43GridwiseGemm_k0mk1_k0nk1_mn_xdl_cshuffle_v1INS_13tensor_layout4gemm8RowMajorES4_S4_DF16_DF16_fDF16_DF16_NS_16tensor_operation12element_wise11PassThroughES7_S7_LNS5_6device18GemmSpecializationE0ELNS_25InMemoryDataOperationEnumE0ELi1ELi256ELi256ELi128ELi32ELi8ELi2ELi16ELi16ELi8ELi4ENS_8SequenceIJLi4ELi64ELi1EEEENSB_IJLi1ELi0ELi2EEEESD_Li2ELi8ELi8ELb0ELi1ENSB_IJLi8ELi32ELi1EEEENSB_IJLi0ELi2ELi1EEEESF_Li1ELi4ELi2ELb0ELi0ELi1ELi2ENSB_IJLi1ELi16ELi1ELi16EEEELi4ELNS_13LoopSchedulerE1ELNS_15PipelineVersionE0EDF16_DF16_EELb0EEEvNT_8ArgumentE,"axG",@progbits,_ZN2ck27kernel_gemm_xdl_cshuffle_v1INS_43GridwiseGemm_k0mk1_k0nk1_mn_xdl_cshuffle_v1INS_13tensor_layout4gemm8RowMajorES4_S4_DF16_DF16_fDF16_DF16_NS_16tensor_operation12element_wise11PassThroughES7_S7_LNS5_6device18GemmSpecializationE0ELNS_25InMemoryDataOperationEnumE0ELi1ELi256ELi256ELi128ELi32ELi8ELi2ELi16ELi16ELi8ELi4ENS_8SequenceIJLi4ELi64ELi1EEEENSB_IJLi1ELi0ELi2EEEESD_Li2ELi8ELi8ELb0ELi1ENSB_IJLi8ELi32ELi1EEEENSB_IJLi0ELi2ELi1EEEESF_Li1ELi4ELi2ELb0ELi0ELi1ELi2ENSB_IJLi1ELi16ELi1ELi16EEEELi4ELNS_13LoopSchedulerE1ELNS_15PipelineVersionE0EDF16_DF16_EELb0EEEvNT_8ArgumentE,comdat
.Lfunc_end2:
	.size	_ZN2ck27kernel_gemm_xdl_cshuffle_v1INS_43GridwiseGemm_k0mk1_k0nk1_mn_xdl_cshuffle_v1INS_13tensor_layout4gemm8RowMajorES4_S4_DF16_DF16_fDF16_DF16_NS_16tensor_operation12element_wise11PassThroughES7_S7_LNS5_6device18GemmSpecializationE0ELNS_25InMemoryDataOperationEnumE0ELi1ELi256ELi256ELi128ELi32ELi8ELi2ELi16ELi16ELi8ELi4ENS_8SequenceIJLi4ELi64ELi1EEEENSB_IJLi1ELi0ELi2EEEESD_Li2ELi8ELi8ELb0ELi1ENSB_IJLi8ELi32ELi1EEEENSB_IJLi0ELi2ELi1EEEESF_Li1ELi4ELi2ELb0ELi0ELi1ELi2ENSB_IJLi1ELi16ELi1ELi16EEEELi4ELNS_13LoopSchedulerE1ELNS_15PipelineVersionE0EDF16_DF16_EELb0EEEvNT_8ArgumentE, .Lfunc_end2-_ZN2ck27kernel_gemm_xdl_cshuffle_v1INS_43GridwiseGemm_k0mk1_k0nk1_mn_xdl_cshuffle_v1INS_13tensor_layout4gemm8RowMajorES4_S4_DF16_DF16_fDF16_DF16_NS_16tensor_operation12element_wise11PassThroughES7_S7_LNS5_6device18GemmSpecializationE0ELNS_25InMemoryDataOperationEnumE0ELi1ELi256ELi256ELi128ELi32ELi8ELi2ELi16ELi16ELi8ELi4ENS_8SequenceIJLi4ELi64ELi1EEEENSB_IJLi1ELi0ELi2EEEESD_Li2ELi8ELi8ELb0ELi1ENSB_IJLi8ELi32ELi1EEEENSB_IJLi0ELi2ELi1EEEESF_Li1ELi4ELi2ELb0ELi0ELi1ELi2ENSB_IJLi1ELi16ELi1ELi16EEEELi4ELNS_13LoopSchedulerE1ELNS_15PipelineVersionE0EDF16_DF16_EELb0EEEvNT_8ArgumentE
                                        ; -- End function
	.set _ZN2ck27kernel_gemm_xdl_cshuffle_v1INS_43GridwiseGemm_k0mk1_k0nk1_mn_xdl_cshuffle_v1INS_13tensor_layout4gemm8RowMajorES4_S4_DF16_DF16_fDF16_DF16_NS_16tensor_operation12element_wise11PassThroughES7_S7_LNS5_6device18GemmSpecializationE0ELNS_25InMemoryDataOperationEnumE0ELi1ELi256ELi256ELi128ELi32ELi8ELi2ELi16ELi16ELi8ELi4ENS_8SequenceIJLi4ELi64ELi1EEEENSB_IJLi1ELi0ELi2EEEESD_Li2ELi8ELi8ELb0ELi1ENSB_IJLi8ELi32ELi1EEEENSB_IJLi0ELi2ELi1EEEESF_Li1ELi4ELi2ELb0ELi0ELi1ELi2ENSB_IJLi1ELi16ELi1ELi16EEEELi4ELNS_13LoopSchedulerE1ELNS_15PipelineVersionE0EDF16_DF16_EELb0EEEvNT_8ArgumentE.num_vgpr, 157
	.set _ZN2ck27kernel_gemm_xdl_cshuffle_v1INS_43GridwiseGemm_k0mk1_k0nk1_mn_xdl_cshuffle_v1INS_13tensor_layout4gemm8RowMajorES4_S4_DF16_DF16_fDF16_DF16_NS_16tensor_operation12element_wise11PassThroughES7_S7_LNS5_6device18GemmSpecializationE0ELNS_25InMemoryDataOperationEnumE0ELi1ELi256ELi256ELi128ELi32ELi8ELi2ELi16ELi16ELi8ELi4ENS_8SequenceIJLi4ELi64ELi1EEEENSB_IJLi1ELi0ELi2EEEESD_Li2ELi8ELi8ELb0ELi1ENSB_IJLi8ELi32ELi1EEEENSB_IJLi0ELi2ELi1EEEESF_Li1ELi4ELi2ELb0ELi0ELi1ELi2ENSB_IJLi1ELi16ELi1ELi16EEEELi4ELNS_13LoopSchedulerE1ELNS_15PipelineVersionE0EDF16_DF16_EELb0EEEvNT_8ArgumentE.num_agpr, 0
	.set _ZN2ck27kernel_gemm_xdl_cshuffle_v1INS_43GridwiseGemm_k0mk1_k0nk1_mn_xdl_cshuffle_v1INS_13tensor_layout4gemm8RowMajorES4_S4_DF16_DF16_fDF16_DF16_NS_16tensor_operation12element_wise11PassThroughES7_S7_LNS5_6device18GemmSpecializationE0ELNS_25InMemoryDataOperationEnumE0ELi1ELi256ELi256ELi128ELi32ELi8ELi2ELi16ELi16ELi8ELi4ENS_8SequenceIJLi4ELi64ELi1EEEENSB_IJLi1ELi0ELi2EEEESD_Li2ELi8ELi8ELb0ELi1ENSB_IJLi8ELi32ELi1EEEENSB_IJLi0ELi2ELi1EEEESF_Li1ELi4ELi2ELb0ELi0ELi1ELi2ENSB_IJLi1ELi16ELi1ELi16EEEELi4ELNS_13LoopSchedulerE1ELNS_15PipelineVersionE0EDF16_DF16_EELb0EEEvNT_8ArgumentE.numbered_sgpr, 23
	.set _ZN2ck27kernel_gemm_xdl_cshuffle_v1INS_43GridwiseGemm_k0mk1_k0nk1_mn_xdl_cshuffle_v1INS_13tensor_layout4gemm8RowMajorES4_S4_DF16_DF16_fDF16_DF16_NS_16tensor_operation12element_wise11PassThroughES7_S7_LNS5_6device18GemmSpecializationE0ELNS_25InMemoryDataOperationEnumE0ELi1ELi256ELi256ELi128ELi32ELi8ELi2ELi16ELi16ELi8ELi4ENS_8SequenceIJLi4ELi64ELi1EEEENSB_IJLi1ELi0ELi2EEEESD_Li2ELi8ELi8ELb0ELi1ENSB_IJLi8ELi32ELi1EEEENSB_IJLi0ELi2ELi1EEEESF_Li1ELi4ELi2ELb0ELi0ELi1ELi2ENSB_IJLi1ELi16ELi1ELi16EEEELi4ELNS_13LoopSchedulerE1ELNS_15PipelineVersionE0EDF16_DF16_EELb0EEEvNT_8ArgumentE.num_named_barrier, 0
	.set _ZN2ck27kernel_gemm_xdl_cshuffle_v1INS_43GridwiseGemm_k0mk1_k0nk1_mn_xdl_cshuffle_v1INS_13tensor_layout4gemm8RowMajorES4_S4_DF16_DF16_fDF16_DF16_NS_16tensor_operation12element_wise11PassThroughES7_S7_LNS5_6device18GemmSpecializationE0ELNS_25InMemoryDataOperationEnumE0ELi1ELi256ELi256ELi128ELi32ELi8ELi2ELi16ELi16ELi8ELi4ENS_8SequenceIJLi4ELi64ELi1EEEENSB_IJLi1ELi0ELi2EEEESD_Li2ELi8ELi8ELb0ELi1ENSB_IJLi8ELi32ELi1EEEENSB_IJLi0ELi2ELi1EEEESF_Li1ELi4ELi2ELb0ELi0ELi1ELi2ENSB_IJLi1ELi16ELi1ELi16EEEELi4ELNS_13LoopSchedulerE1ELNS_15PipelineVersionE0EDF16_DF16_EELb0EEEvNT_8ArgumentE.private_seg_size, 0
	.set _ZN2ck27kernel_gemm_xdl_cshuffle_v1INS_43GridwiseGemm_k0mk1_k0nk1_mn_xdl_cshuffle_v1INS_13tensor_layout4gemm8RowMajorES4_S4_DF16_DF16_fDF16_DF16_NS_16tensor_operation12element_wise11PassThroughES7_S7_LNS5_6device18GemmSpecializationE0ELNS_25InMemoryDataOperationEnumE0ELi1ELi256ELi256ELi128ELi32ELi8ELi2ELi16ELi16ELi8ELi4ENS_8SequenceIJLi4ELi64ELi1EEEENSB_IJLi1ELi0ELi2EEEESD_Li2ELi8ELi8ELb0ELi1ENSB_IJLi8ELi32ELi1EEEENSB_IJLi0ELi2ELi1EEEESF_Li1ELi4ELi2ELb0ELi0ELi1ELi2ENSB_IJLi1ELi16ELi1ELi16EEEELi4ELNS_13LoopSchedulerE1ELNS_15PipelineVersionE0EDF16_DF16_EELb0EEEvNT_8ArgumentE.uses_vcc, 0
	.set _ZN2ck27kernel_gemm_xdl_cshuffle_v1INS_43GridwiseGemm_k0mk1_k0nk1_mn_xdl_cshuffle_v1INS_13tensor_layout4gemm8RowMajorES4_S4_DF16_DF16_fDF16_DF16_NS_16tensor_operation12element_wise11PassThroughES7_S7_LNS5_6device18GemmSpecializationE0ELNS_25InMemoryDataOperationEnumE0ELi1ELi256ELi256ELi128ELi32ELi8ELi2ELi16ELi16ELi8ELi4ENS_8SequenceIJLi4ELi64ELi1EEEENSB_IJLi1ELi0ELi2EEEESD_Li2ELi8ELi8ELb0ELi1ENSB_IJLi8ELi32ELi1EEEENSB_IJLi0ELi2ELi1EEEESF_Li1ELi4ELi2ELb0ELi0ELi1ELi2ENSB_IJLi1ELi16ELi1ELi16EEEELi4ELNS_13LoopSchedulerE1ELNS_15PipelineVersionE0EDF16_DF16_EELb0EEEvNT_8ArgumentE.uses_flat_scratch, 0
	.set _ZN2ck27kernel_gemm_xdl_cshuffle_v1INS_43GridwiseGemm_k0mk1_k0nk1_mn_xdl_cshuffle_v1INS_13tensor_layout4gemm8RowMajorES4_S4_DF16_DF16_fDF16_DF16_NS_16tensor_operation12element_wise11PassThroughES7_S7_LNS5_6device18GemmSpecializationE0ELNS_25InMemoryDataOperationEnumE0ELi1ELi256ELi256ELi128ELi32ELi8ELi2ELi16ELi16ELi8ELi4ENS_8SequenceIJLi4ELi64ELi1EEEENSB_IJLi1ELi0ELi2EEEESD_Li2ELi8ELi8ELb0ELi1ENSB_IJLi8ELi32ELi1EEEENSB_IJLi0ELi2ELi1EEEESF_Li1ELi4ELi2ELb0ELi0ELi1ELi2ENSB_IJLi1ELi16ELi1ELi16EEEELi4ELNS_13LoopSchedulerE1ELNS_15PipelineVersionE0EDF16_DF16_EELb0EEEvNT_8ArgumentE.has_dyn_sized_stack, 0
	.set _ZN2ck27kernel_gemm_xdl_cshuffle_v1INS_43GridwiseGemm_k0mk1_k0nk1_mn_xdl_cshuffle_v1INS_13tensor_layout4gemm8RowMajorES4_S4_DF16_DF16_fDF16_DF16_NS_16tensor_operation12element_wise11PassThroughES7_S7_LNS5_6device18GemmSpecializationE0ELNS_25InMemoryDataOperationEnumE0ELi1ELi256ELi256ELi128ELi32ELi8ELi2ELi16ELi16ELi8ELi4ENS_8SequenceIJLi4ELi64ELi1EEEENSB_IJLi1ELi0ELi2EEEESD_Li2ELi8ELi8ELb0ELi1ENSB_IJLi8ELi32ELi1EEEENSB_IJLi0ELi2ELi1EEEESF_Li1ELi4ELi2ELb0ELi0ELi1ELi2ENSB_IJLi1ELi16ELi1ELi16EEEELi4ELNS_13LoopSchedulerE1ELNS_15PipelineVersionE0EDF16_DF16_EELb0EEEvNT_8ArgumentE.has_recursion, 0
	.set _ZN2ck27kernel_gemm_xdl_cshuffle_v1INS_43GridwiseGemm_k0mk1_k0nk1_mn_xdl_cshuffle_v1INS_13tensor_layout4gemm8RowMajorES4_S4_DF16_DF16_fDF16_DF16_NS_16tensor_operation12element_wise11PassThroughES7_S7_LNS5_6device18GemmSpecializationE0ELNS_25InMemoryDataOperationEnumE0ELi1ELi256ELi256ELi128ELi32ELi8ELi2ELi16ELi16ELi8ELi4ENS_8SequenceIJLi4ELi64ELi1EEEENSB_IJLi1ELi0ELi2EEEESD_Li2ELi8ELi8ELb0ELi1ENSB_IJLi8ELi32ELi1EEEENSB_IJLi0ELi2ELi1EEEESF_Li1ELi4ELi2ELb0ELi0ELi1ELi2ENSB_IJLi1ELi16ELi1ELi16EEEELi4ELNS_13LoopSchedulerE1ELNS_15PipelineVersionE0EDF16_DF16_EELb0EEEvNT_8ArgumentE.has_indirect_call, 0
	.section	.AMDGPU.csdata,"",@progbits
; Kernel info:
; codeLenInByte = 4100
; TotalNumSgprs: 29
; NumVgprs: 157
; NumAgprs: 0
; TotalNumVgprs: 157
; ScratchSize: 0
; MemoryBound: 0
; FloatMode: 240
; IeeeMode: 1
; LDSByteSize: 24624 bytes/workgroup (compile time only)
; SGPRBlocks: 12
; VGPRBlocks: 19
; NumSGPRsForWavesPerEU: 97
; NumVGPRsForWavesPerEU: 157
; AccumOffset: 160
; Occupancy: 3
; WaveLimiterHint : 0
; COMPUTE_PGM_RSRC2:SCRATCH_EN: 0
; COMPUTE_PGM_RSRC2:USER_SGPR: 2
; COMPUTE_PGM_RSRC2:TRAP_HANDLER: 0
; COMPUTE_PGM_RSRC2:TGID_X_EN: 1
; COMPUTE_PGM_RSRC2:TGID_Y_EN: 0
; COMPUTE_PGM_RSRC2:TGID_Z_EN: 0
; COMPUTE_PGM_RSRC2:TIDIG_COMP_CNT: 0
; COMPUTE_PGM_RSRC3_GFX90A:ACCUM_OFFSET: 39
; COMPUTE_PGM_RSRC3_GFX90A:TG_SPLIT: 0
	.section	.text._ZN2ck27kernel_gemm_xdl_cshuffle_v1INS_43GridwiseGemm_k0mk1_k0nk1_mn_xdl_cshuffle_v1INS_13tensor_layout4gemm8RowMajorES4_S4_DF16_DF16_fDF16_DF16_NS_16tensor_operation12element_wise11PassThroughES7_S7_LNS5_6device18GemmSpecializationE0ELNS_25InMemoryDataOperationEnumE0ELi1ELi256ELi256ELi128ELi32ELi8ELi2ELi16ELi16ELi8ELi2ENS_8SequenceIJLi4ELi64ELi1EEEENSB_IJLi1ELi0ELi2EEEESD_Li2ELi8ELi8ELb0ELi1ENSB_IJLi8ELi32ELi1EEEENSB_IJLi0ELi2ELi1EEEESF_Li1ELi4ELi2ELb0ELi0ELi1ELi2ENSB_IJLi1ELi16ELi1ELi16EEEELi4ELNS_13LoopSchedulerE1ELNS_15PipelineVersionE0EDF16_DF16_EELb1EEEvNT_8ArgumentE,"axG",@progbits,_ZN2ck27kernel_gemm_xdl_cshuffle_v1INS_43GridwiseGemm_k0mk1_k0nk1_mn_xdl_cshuffle_v1INS_13tensor_layout4gemm8RowMajorES4_S4_DF16_DF16_fDF16_DF16_NS_16tensor_operation12element_wise11PassThroughES7_S7_LNS5_6device18GemmSpecializationE0ELNS_25InMemoryDataOperationEnumE0ELi1ELi256ELi256ELi128ELi32ELi8ELi2ELi16ELi16ELi8ELi2ENS_8SequenceIJLi4ELi64ELi1EEEENSB_IJLi1ELi0ELi2EEEESD_Li2ELi8ELi8ELb0ELi1ENSB_IJLi8ELi32ELi1EEEENSB_IJLi0ELi2ELi1EEEESF_Li1ELi4ELi2ELb0ELi0ELi1ELi2ENSB_IJLi1ELi16ELi1ELi16EEEELi4ELNS_13LoopSchedulerE1ELNS_15PipelineVersionE0EDF16_DF16_EELb1EEEvNT_8ArgumentE,comdat
	.protected	_ZN2ck27kernel_gemm_xdl_cshuffle_v1INS_43GridwiseGemm_k0mk1_k0nk1_mn_xdl_cshuffle_v1INS_13tensor_layout4gemm8RowMajorES4_S4_DF16_DF16_fDF16_DF16_NS_16tensor_operation12element_wise11PassThroughES7_S7_LNS5_6device18GemmSpecializationE0ELNS_25InMemoryDataOperationEnumE0ELi1ELi256ELi256ELi128ELi32ELi8ELi2ELi16ELi16ELi8ELi2ENS_8SequenceIJLi4ELi64ELi1EEEENSB_IJLi1ELi0ELi2EEEESD_Li2ELi8ELi8ELb0ELi1ENSB_IJLi8ELi32ELi1EEEENSB_IJLi0ELi2ELi1EEEESF_Li1ELi4ELi2ELb0ELi0ELi1ELi2ENSB_IJLi1ELi16ELi1ELi16EEEELi4ELNS_13LoopSchedulerE1ELNS_15PipelineVersionE0EDF16_DF16_EELb1EEEvNT_8ArgumentE ; -- Begin function _ZN2ck27kernel_gemm_xdl_cshuffle_v1INS_43GridwiseGemm_k0mk1_k0nk1_mn_xdl_cshuffle_v1INS_13tensor_layout4gemm8RowMajorES4_S4_DF16_DF16_fDF16_DF16_NS_16tensor_operation12element_wise11PassThroughES7_S7_LNS5_6device18GemmSpecializationE0ELNS_25InMemoryDataOperationEnumE0ELi1ELi256ELi256ELi128ELi32ELi8ELi2ELi16ELi16ELi8ELi2ENS_8SequenceIJLi4ELi64ELi1EEEENSB_IJLi1ELi0ELi2EEEESD_Li2ELi8ELi8ELb0ELi1ENSB_IJLi8ELi32ELi1EEEENSB_IJLi0ELi2ELi1EEEESF_Li1ELi4ELi2ELb0ELi0ELi1ELi2ENSB_IJLi1ELi16ELi1ELi16EEEELi4ELNS_13LoopSchedulerE1ELNS_15PipelineVersionE0EDF16_DF16_EELb1EEEvNT_8ArgumentE
	.globl	_ZN2ck27kernel_gemm_xdl_cshuffle_v1INS_43GridwiseGemm_k0mk1_k0nk1_mn_xdl_cshuffle_v1INS_13tensor_layout4gemm8RowMajorES4_S4_DF16_DF16_fDF16_DF16_NS_16tensor_operation12element_wise11PassThroughES7_S7_LNS5_6device18GemmSpecializationE0ELNS_25InMemoryDataOperationEnumE0ELi1ELi256ELi256ELi128ELi32ELi8ELi2ELi16ELi16ELi8ELi2ENS_8SequenceIJLi4ELi64ELi1EEEENSB_IJLi1ELi0ELi2EEEESD_Li2ELi8ELi8ELb0ELi1ENSB_IJLi8ELi32ELi1EEEENSB_IJLi0ELi2ELi1EEEESF_Li1ELi4ELi2ELb0ELi0ELi1ELi2ENSB_IJLi1ELi16ELi1ELi16EEEELi4ELNS_13LoopSchedulerE1ELNS_15PipelineVersionE0EDF16_DF16_EELb1EEEvNT_8ArgumentE
	.p2align	8
	.type	_ZN2ck27kernel_gemm_xdl_cshuffle_v1INS_43GridwiseGemm_k0mk1_k0nk1_mn_xdl_cshuffle_v1INS_13tensor_layout4gemm8RowMajorES4_S4_DF16_DF16_fDF16_DF16_NS_16tensor_operation12element_wise11PassThroughES7_S7_LNS5_6device18GemmSpecializationE0ELNS_25InMemoryDataOperationEnumE0ELi1ELi256ELi256ELi128ELi32ELi8ELi2ELi16ELi16ELi8ELi2ENS_8SequenceIJLi4ELi64ELi1EEEENSB_IJLi1ELi0ELi2EEEESD_Li2ELi8ELi8ELb0ELi1ENSB_IJLi8ELi32ELi1EEEENSB_IJLi0ELi2ELi1EEEESF_Li1ELi4ELi2ELb0ELi0ELi1ELi2ENSB_IJLi1ELi16ELi1ELi16EEEELi4ELNS_13LoopSchedulerE1ELNS_15PipelineVersionE0EDF16_DF16_EELb1EEEvNT_8ArgumentE,@function
_ZN2ck27kernel_gemm_xdl_cshuffle_v1INS_43GridwiseGemm_k0mk1_k0nk1_mn_xdl_cshuffle_v1INS_13tensor_layout4gemm8RowMajorES4_S4_DF16_DF16_fDF16_DF16_NS_16tensor_operation12element_wise11PassThroughES7_S7_LNS5_6device18GemmSpecializationE0ELNS_25InMemoryDataOperationEnumE0ELi1ELi256ELi256ELi128ELi32ELi8ELi2ELi16ELi16ELi8ELi2ENS_8SequenceIJLi4ELi64ELi1EEEENSB_IJLi1ELi0ELi2EEEESD_Li2ELi8ELi8ELb0ELi1ENSB_IJLi8ELi32ELi1EEEENSB_IJLi0ELi2ELi1EEEESF_Li1ELi4ELi2ELb0ELi0ELi1ELi2ENSB_IJLi1ELi16ELi1ELi16EEEELi4ELNS_13LoopSchedulerE1ELNS_15PipelineVersionE0EDF16_DF16_EELb1EEEvNT_8ArgumentE: ; @_ZN2ck27kernel_gemm_xdl_cshuffle_v1INS_43GridwiseGemm_k0mk1_k0nk1_mn_xdl_cshuffle_v1INS_13tensor_layout4gemm8RowMajorES4_S4_DF16_DF16_fDF16_DF16_NS_16tensor_operation12element_wise11PassThroughES7_S7_LNS5_6device18GemmSpecializationE0ELNS_25InMemoryDataOperationEnumE0ELi1ELi256ELi256ELi128ELi32ELi8ELi2ELi16ELi16ELi8ELi2ENS_8SequenceIJLi4ELi64ELi1EEEENSB_IJLi1ELi0ELi2EEEESD_Li2ELi8ELi8ELb0ELi1ENSB_IJLi8ELi32ELi1EEEENSB_IJLi0ELi2ELi1EEEESF_Li1ELi4ELi2ELb0ELi0ELi1ELi2ENSB_IJLi1ELi16ELi1ELi16EEEELi4ELNS_13LoopSchedulerE1ELNS_15PipelineVersionE0EDF16_DF16_EELb1EEEvNT_8ArgumentE
; %bb.0:
	s_endpgm
	.section	.rodata,"a",@progbits
	.p2align	6, 0x0
	.amdhsa_kernel _ZN2ck27kernel_gemm_xdl_cshuffle_v1INS_43GridwiseGemm_k0mk1_k0nk1_mn_xdl_cshuffle_v1INS_13tensor_layout4gemm8RowMajorES4_S4_DF16_DF16_fDF16_DF16_NS_16tensor_operation12element_wise11PassThroughES7_S7_LNS5_6device18GemmSpecializationE0ELNS_25InMemoryDataOperationEnumE0ELi1ELi256ELi256ELi128ELi32ELi8ELi2ELi16ELi16ELi8ELi2ENS_8SequenceIJLi4ELi64ELi1EEEENSB_IJLi1ELi0ELi2EEEESD_Li2ELi8ELi8ELb0ELi1ENSB_IJLi8ELi32ELi1EEEENSB_IJLi0ELi2ELi1EEEESF_Li1ELi4ELi2ELb0ELi0ELi1ELi2ENSB_IJLi1ELi16ELi1ELi16EEEELi4ELNS_13LoopSchedulerE1ELNS_15PipelineVersionE0EDF16_DF16_EELb1EEEvNT_8ArgumentE
		.amdhsa_group_segment_fixed_size 0
		.amdhsa_private_segment_fixed_size 0
		.amdhsa_kernarg_size 96
		.amdhsa_user_sgpr_count 2
		.amdhsa_user_sgpr_dispatch_ptr 0
		.amdhsa_user_sgpr_queue_ptr 0
		.amdhsa_user_sgpr_kernarg_segment_ptr 1
		.amdhsa_user_sgpr_dispatch_id 0
		.amdhsa_user_sgpr_kernarg_preload_length 0
		.amdhsa_user_sgpr_kernarg_preload_offset 0
		.amdhsa_user_sgpr_private_segment_size 0
		.amdhsa_uses_dynamic_stack 0
		.amdhsa_enable_private_segment 0
		.amdhsa_system_sgpr_workgroup_id_x 1
		.amdhsa_system_sgpr_workgroup_id_y 0
		.amdhsa_system_sgpr_workgroup_id_z 0
		.amdhsa_system_sgpr_workgroup_info 0
		.amdhsa_system_vgpr_workitem_id 0
		.amdhsa_next_free_vgpr 1
		.amdhsa_next_free_sgpr 0
		.amdhsa_accum_offset 4
		.amdhsa_reserve_vcc 0
		.amdhsa_float_round_mode_32 0
		.amdhsa_float_round_mode_16_64 0
		.amdhsa_float_denorm_mode_32 3
		.amdhsa_float_denorm_mode_16_64 3
		.amdhsa_dx10_clamp 1
		.amdhsa_ieee_mode 1
		.amdhsa_fp16_overflow 0
		.amdhsa_tg_split 0
		.amdhsa_exception_fp_ieee_invalid_op 0
		.amdhsa_exception_fp_denorm_src 0
		.amdhsa_exception_fp_ieee_div_zero 0
		.amdhsa_exception_fp_ieee_overflow 0
		.amdhsa_exception_fp_ieee_underflow 0
		.amdhsa_exception_fp_ieee_inexact 0
		.amdhsa_exception_int_div_zero 0
	.end_amdhsa_kernel
	.section	.text._ZN2ck27kernel_gemm_xdl_cshuffle_v1INS_43GridwiseGemm_k0mk1_k0nk1_mn_xdl_cshuffle_v1INS_13tensor_layout4gemm8RowMajorES4_S4_DF16_DF16_fDF16_DF16_NS_16tensor_operation12element_wise11PassThroughES7_S7_LNS5_6device18GemmSpecializationE0ELNS_25InMemoryDataOperationEnumE0ELi1ELi256ELi256ELi128ELi32ELi8ELi2ELi16ELi16ELi8ELi2ENS_8SequenceIJLi4ELi64ELi1EEEENSB_IJLi1ELi0ELi2EEEESD_Li2ELi8ELi8ELb0ELi1ENSB_IJLi8ELi32ELi1EEEENSB_IJLi0ELi2ELi1EEEESF_Li1ELi4ELi2ELb0ELi0ELi1ELi2ENSB_IJLi1ELi16ELi1ELi16EEEELi4ELNS_13LoopSchedulerE1ELNS_15PipelineVersionE0EDF16_DF16_EELb1EEEvNT_8ArgumentE,"axG",@progbits,_ZN2ck27kernel_gemm_xdl_cshuffle_v1INS_43GridwiseGemm_k0mk1_k0nk1_mn_xdl_cshuffle_v1INS_13tensor_layout4gemm8RowMajorES4_S4_DF16_DF16_fDF16_DF16_NS_16tensor_operation12element_wise11PassThroughES7_S7_LNS5_6device18GemmSpecializationE0ELNS_25InMemoryDataOperationEnumE0ELi1ELi256ELi256ELi128ELi32ELi8ELi2ELi16ELi16ELi8ELi2ENS_8SequenceIJLi4ELi64ELi1EEEENSB_IJLi1ELi0ELi2EEEESD_Li2ELi8ELi8ELb0ELi1ENSB_IJLi8ELi32ELi1EEEENSB_IJLi0ELi2ELi1EEEESF_Li1ELi4ELi2ELb0ELi0ELi1ELi2ENSB_IJLi1ELi16ELi1ELi16EEEELi4ELNS_13LoopSchedulerE1ELNS_15PipelineVersionE0EDF16_DF16_EELb1EEEvNT_8ArgumentE,comdat
.Lfunc_end3:
	.size	_ZN2ck27kernel_gemm_xdl_cshuffle_v1INS_43GridwiseGemm_k0mk1_k0nk1_mn_xdl_cshuffle_v1INS_13tensor_layout4gemm8RowMajorES4_S4_DF16_DF16_fDF16_DF16_NS_16tensor_operation12element_wise11PassThroughES7_S7_LNS5_6device18GemmSpecializationE0ELNS_25InMemoryDataOperationEnumE0ELi1ELi256ELi256ELi128ELi32ELi8ELi2ELi16ELi16ELi8ELi2ENS_8SequenceIJLi4ELi64ELi1EEEENSB_IJLi1ELi0ELi2EEEESD_Li2ELi8ELi8ELb0ELi1ENSB_IJLi8ELi32ELi1EEEENSB_IJLi0ELi2ELi1EEEESF_Li1ELi4ELi2ELb0ELi0ELi1ELi2ENSB_IJLi1ELi16ELi1ELi16EEEELi4ELNS_13LoopSchedulerE1ELNS_15PipelineVersionE0EDF16_DF16_EELb1EEEvNT_8ArgumentE, .Lfunc_end3-_ZN2ck27kernel_gemm_xdl_cshuffle_v1INS_43GridwiseGemm_k0mk1_k0nk1_mn_xdl_cshuffle_v1INS_13tensor_layout4gemm8RowMajorES4_S4_DF16_DF16_fDF16_DF16_NS_16tensor_operation12element_wise11PassThroughES7_S7_LNS5_6device18GemmSpecializationE0ELNS_25InMemoryDataOperationEnumE0ELi1ELi256ELi256ELi128ELi32ELi8ELi2ELi16ELi16ELi8ELi2ENS_8SequenceIJLi4ELi64ELi1EEEENSB_IJLi1ELi0ELi2EEEESD_Li2ELi8ELi8ELb0ELi1ENSB_IJLi8ELi32ELi1EEEENSB_IJLi0ELi2ELi1EEEESF_Li1ELi4ELi2ELb0ELi0ELi1ELi2ENSB_IJLi1ELi16ELi1ELi16EEEELi4ELNS_13LoopSchedulerE1ELNS_15PipelineVersionE0EDF16_DF16_EELb1EEEvNT_8ArgumentE
                                        ; -- End function
	.set _ZN2ck27kernel_gemm_xdl_cshuffle_v1INS_43GridwiseGemm_k0mk1_k0nk1_mn_xdl_cshuffle_v1INS_13tensor_layout4gemm8RowMajorES4_S4_DF16_DF16_fDF16_DF16_NS_16tensor_operation12element_wise11PassThroughES7_S7_LNS5_6device18GemmSpecializationE0ELNS_25InMemoryDataOperationEnumE0ELi1ELi256ELi256ELi128ELi32ELi8ELi2ELi16ELi16ELi8ELi2ENS_8SequenceIJLi4ELi64ELi1EEEENSB_IJLi1ELi0ELi2EEEESD_Li2ELi8ELi8ELb0ELi1ENSB_IJLi8ELi32ELi1EEEENSB_IJLi0ELi2ELi1EEEESF_Li1ELi4ELi2ELb0ELi0ELi1ELi2ENSB_IJLi1ELi16ELi1ELi16EEEELi4ELNS_13LoopSchedulerE1ELNS_15PipelineVersionE0EDF16_DF16_EELb1EEEvNT_8ArgumentE.num_vgpr, 0
	.set _ZN2ck27kernel_gemm_xdl_cshuffle_v1INS_43GridwiseGemm_k0mk1_k0nk1_mn_xdl_cshuffle_v1INS_13tensor_layout4gemm8RowMajorES4_S4_DF16_DF16_fDF16_DF16_NS_16tensor_operation12element_wise11PassThroughES7_S7_LNS5_6device18GemmSpecializationE0ELNS_25InMemoryDataOperationEnumE0ELi1ELi256ELi256ELi128ELi32ELi8ELi2ELi16ELi16ELi8ELi2ENS_8SequenceIJLi4ELi64ELi1EEEENSB_IJLi1ELi0ELi2EEEESD_Li2ELi8ELi8ELb0ELi1ENSB_IJLi8ELi32ELi1EEEENSB_IJLi0ELi2ELi1EEEESF_Li1ELi4ELi2ELb0ELi0ELi1ELi2ENSB_IJLi1ELi16ELi1ELi16EEEELi4ELNS_13LoopSchedulerE1ELNS_15PipelineVersionE0EDF16_DF16_EELb1EEEvNT_8ArgumentE.num_agpr, 0
	.set _ZN2ck27kernel_gemm_xdl_cshuffle_v1INS_43GridwiseGemm_k0mk1_k0nk1_mn_xdl_cshuffle_v1INS_13tensor_layout4gemm8RowMajorES4_S4_DF16_DF16_fDF16_DF16_NS_16tensor_operation12element_wise11PassThroughES7_S7_LNS5_6device18GemmSpecializationE0ELNS_25InMemoryDataOperationEnumE0ELi1ELi256ELi256ELi128ELi32ELi8ELi2ELi16ELi16ELi8ELi2ENS_8SequenceIJLi4ELi64ELi1EEEENSB_IJLi1ELi0ELi2EEEESD_Li2ELi8ELi8ELb0ELi1ENSB_IJLi8ELi32ELi1EEEENSB_IJLi0ELi2ELi1EEEESF_Li1ELi4ELi2ELb0ELi0ELi1ELi2ENSB_IJLi1ELi16ELi1ELi16EEEELi4ELNS_13LoopSchedulerE1ELNS_15PipelineVersionE0EDF16_DF16_EELb1EEEvNT_8ArgumentE.numbered_sgpr, 0
	.set _ZN2ck27kernel_gemm_xdl_cshuffle_v1INS_43GridwiseGemm_k0mk1_k0nk1_mn_xdl_cshuffle_v1INS_13tensor_layout4gemm8RowMajorES4_S4_DF16_DF16_fDF16_DF16_NS_16tensor_operation12element_wise11PassThroughES7_S7_LNS5_6device18GemmSpecializationE0ELNS_25InMemoryDataOperationEnumE0ELi1ELi256ELi256ELi128ELi32ELi8ELi2ELi16ELi16ELi8ELi2ENS_8SequenceIJLi4ELi64ELi1EEEENSB_IJLi1ELi0ELi2EEEESD_Li2ELi8ELi8ELb0ELi1ENSB_IJLi8ELi32ELi1EEEENSB_IJLi0ELi2ELi1EEEESF_Li1ELi4ELi2ELb0ELi0ELi1ELi2ENSB_IJLi1ELi16ELi1ELi16EEEELi4ELNS_13LoopSchedulerE1ELNS_15PipelineVersionE0EDF16_DF16_EELb1EEEvNT_8ArgumentE.num_named_barrier, 0
	.set _ZN2ck27kernel_gemm_xdl_cshuffle_v1INS_43GridwiseGemm_k0mk1_k0nk1_mn_xdl_cshuffle_v1INS_13tensor_layout4gemm8RowMajorES4_S4_DF16_DF16_fDF16_DF16_NS_16tensor_operation12element_wise11PassThroughES7_S7_LNS5_6device18GemmSpecializationE0ELNS_25InMemoryDataOperationEnumE0ELi1ELi256ELi256ELi128ELi32ELi8ELi2ELi16ELi16ELi8ELi2ENS_8SequenceIJLi4ELi64ELi1EEEENSB_IJLi1ELi0ELi2EEEESD_Li2ELi8ELi8ELb0ELi1ENSB_IJLi8ELi32ELi1EEEENSB_IJLi0ELi2ELi1EEEESF_Li1ELi4ELi2ELb0ELi0ELi1ELi2ENSB_IJLi1ELi16ELi1ELi16EEEELi4ELNS_13LoopSchedulerE1ELNS_15PipelineVersionE0EDF16_DF16_EELb1EEEvNT_8ArgumentE.private_seg_size, 0
	.set _ZN2ck27kernel_gemm_xdl_cshuffle_v1INS_43GridwiseGemm_k0mk1_k0nk1_mn_xdl_cshuffle_v1INS_13tensor_layout4gemm8RowMajorES4_S4_DF16_DF16_fDF16_DF16_NS_16tensor_operation12element_wise11PassThroughES7_S7_LNS5_6device18GemmSpecializationE0ELNS_25InMemoryDataOperationEnumE0ELi1ELi256ELi256ELi128ELi32ELi8ELi2ELi16ELi16ELi8ELi2ENS_8SequenceIJLi4ELi64ELi1EEEENSB_IJLi1ELi0ELi2EEEESD_Li2ELi8ELi8ELb0ELi1ENSB_IJLi8ELi32ELi1EEEENSB_IJLi0ELi2ELi1EEEESF_Li1ELi4ELi2ELb0ELi0ELi1ELi2ENSB_IJLi1ELi16ELi1ELi16EEEELi4ELNS_13LoopSchedulerE1ELNS_15PipelineVersionE0EDF16_DF16_EELb1EEEvNT_8ArgumentE.uses_vcc, 0
	.set _ZN2ck27kernel_gemm_xdl_cshuffle_v1INS_43GridwiseGemm_k0mk1_k0nk1_mn_xdl_cshuffle_v1INS_13tensor_layout4gemm8RowMajorES4_S4_DF16_DF16_fDF16_DF16_NS_16tensor_operation12element_wise11PassThroughES7_S7_LNS5_6device18GemmSpecializationE0ELNS_25InMemoryDataOperationEnumE0ELi1ELi256ELi256ELi128ELi32ELi8ELi2ELi16ELi16ELi8ELi2ENS_8SequenceIJLi4ELi64ELi1EEEENSB_IJLi1ELi0ELi2EEEESD_Li2ELi8ELi8ELb0ELi1ENSB_IJLi8ELi32ELi1EEEENSB_IJLi0ELi2ELi1EEEESF_Li1ELi4ELi2ELb0ELi0ELi1ELi2ENSB_IJLi1ELi16ELi1ELi16EEEELi4ELNS_13LoopSchedulerE1ELNS_15PipelineVersionE0EDF16_DF16_EELb1EEEvNT_8ArgumentE.uses_flat_scratch, 0
	.set _ZN2ck27kernel_gemm_xdl_cshuffle_v1INS_43GridwiseGemm_k0mk1_k0nk1_mn_xdl_cshuffle_v1INS_13tensor_layout4gemm8RowMajorES4_S4_DF16_DF16_fDF16_DF16_NS_16tensor_operation12element_wise11PassThroughES7_S7_LNS5_6device18GemmSpecializationE0ELNS_25InMemoryDataOperationEnumE0ELi1ELi256ELi256ELi128ELi32ELi8ELi2ELi16ELi16ELi8ELi2ENS_8SequenceIJLi4ELi64ELi1EEEENSB_IJLi1ELi0ELi2EEEESD_Li2ELi8ELi8ELb0ELi1ENSB_IJLi8ELi32ELi1EEEENSB_IJLi0ELi2ELi1EEEESF_Li1ELi4ELi2ELb0ELi0ELi1ELi2ENSB_IJLi1ELi16ELi1ELi16EEEELi4ELNS_13LoopSchedulerE1ELNS_15PipelineVersionE0EDF16_DF16_EELb1EEEvNT_8ArgumentE.has_dyn_sized_stack, 0
	.set _ZN2ck27kernel_gemm_xdl_cshuffle_v1INS_43GridwiseGemm_k0mk1_k0nk1_mn_xdl_cshuffle_v1INS_13tensor_layout4gemm8RowMajorES4_S4_DF16_DF16_fDF16_DF16_NS_16tensor_operation12element_wise11PassThroughES7_S7_LNS5_6device18GemmSpecializationE0ELNS_25InMemoryDataOperationEnumE0ELi1ELi256ELi256ELi128ELi32ELi8ELi2ELi16ELi16ELi8ELi2ENS_8SequenceIJLi4ELi64ELi1EEEENSB_IJLi1ELi0ELi2EEEESD_Li2ELi8ELi8ELb0ELi1ENSB_IJLi8ELi32ELi1EEEENSB_IJLi0ELi2ELi1EEEESF_Li1ELi4ELi2ELb0ELi0ELi1ELi2ENSB_IJLi1ELi16ELi1ELi16EEEELi4ELNS_13LoopSchedulerE1ELNS_15PipelineVersionE0EDF16_DF16_EELb1EEEvNT_8ArgumentE.has_recursion, 0
	.set _ZN2ck27kernel_gemm_xdl_cshuffle_v1INS_43GridwiseGemm_k0mk1_k0nk1_mn_xdl_cshuffle_v1INS_13tensor_layout4gemm8RowMajorES4_S4_DF16_DF16_fDF16_DF16_NS_16tensor_operation12element_wise11PassThroughES7_S7_LNS5_6device18GemmSpecializationE0ELNS_25InMemoryDataOperationEnumE0ELi1ELi256ELi256ELi128ELi32ELi8ELi2ELi16ELi16ELi8ELi2ENS_8SequenceIJLi4ELi64ELi1EEEENSB_IJLi1ELi0ELi2EEEESD_Li2ELi8ELi8ELb0ELi1ENSB_IJLi8ELi32ELi1EEEENSB_IJLi0ELi2ELi1EEEESF_Li1ELi4ELi2ELb0ELi0ELi1ELi2ENSB_IJLi1ELi16ELi1ELi16EEEELi4ELNS_13LoopSchedulerE1ELNS_15PipelineVersionE0EDF16_DF16_EELb1EEEvNT_8ArgumentE.has_indirect_call, 0
	.section	.AMDGPU.csdata,"",@progbits
; Kernel info:
; codeLenInByte = 4
; TotalNumSgprs: 6
; NumVgprs: 0
; NumAgprs: 0
; TotalNumVgprs: 0
; ScratchSize: 0
; MemoryBound: 0
; FloatMode: 240
; IeeeMode: 1
; LDSByteSize: 0 bytes/workgroup (compile time only)
; SGPRBlocks: 0
; VGPRBlocks: 0
; NumSGPRsForWavesPerEU: 6
; NumVGPRsForWavesPerEU: 1
; AccumOffset: 4
; Occupancy: 8
; WaveLimiterHint : 0
; COMPUTE_PGM_RSRC2:SCRATCH_EN: 0
; COMPUTE_PGM_RSRC2:USER_SGPR: 2
; COMPUTE_PGM_RSRC2:TRAP_HANDLER: 0
; COMPUTE_PGM_RSRC2:TGID_X_EN: 1
; COMPUTE_PGM_RSRC2:TGID_Y_EN: 0
; COMPUTE_PGM_RSRC2:TGID_Z_EN: 0
; COMPUTE_PGM_RSRC2:TIDIG_COMP_CNT: 0
; COMPUTE_PGM_RSRC3_GFX90A:ACCUM_OFFSET: 0
; COMPUTE_PGM_RSRC3_GFX90A:TG_SPLIT: 0
	.section	.text._ZN2ck27kernel_gemm_xdl_cshuffle_v1INS_43GridwiseGemm_k0mk1_k0nk1_mn_xdl_cshuffle_v1INS_13tensor_layout4gemm8RowMajorES4_S4_DF16_DF16_fDF16_DF16_NS_16tensor_operation12element_wise11PassThroughES7_S7_LNS5_6device18GemmSpecializationE0ELNS_25InMemoryDataOperationEnumE0ELi1ELi256ELi256ELi128ELi32ELi8ELi2ELi16ELi16ELi8ELi2ENS_8SequenceIJLi4ELi64ELi1EEEENSB_IJLi1ELi0ELi2EEEESD_Li2ELi8ELi8ELb0ELi1ENSB_IJLi8ELi32ELi1EEEENSB_IJLi0ELi2ELi1EEEESF_Li1ELi4ELi2ELb0ELi0ELi1ELi2ENSB_IJLi1ELi16ELi1ELi16EEEELi4ELNS_13LoopSchedulerE1ELNS_15PipelineVersionE0EDF16_DF16_EELb0EEEvNT_8ArgumentE,"axG",@progbits,_ZN2ck27kernel_gemm_xdl_cshuffle_v1INS_43GridwiseGemm_k0mk1_k0nk1_mn_xdl_cshuffle_v1INS_13tensor_layout4gemm8RowMajorES4_S4_DF16_DF16_fDF16_DF16_NS_16tensor_operation12element_wise11PassThroughES7_S7_LNS5_6device18GemmSpecializationE0ELNS_25InMemoryDataOperationEnumE0ELi1ELi256ELi256ELi128ELi32ELi8ELi2ELi16ELi16ELi8ELi2ENS_8SequenceIJLi4ELi64ELi1EEEENSB_IJLi1ELi0ELi2EEEESD_Li2ELi8ELi8ELb0ELi1ENSB_IJLi8ELi32ELi1EEEENSB_IJLi0ELi2ELi1EEEESF_Li1ELi4ELi2ELb0ELi0ELi1ELi2ENSB_IJLi1ELi16ELi1ELi16EEEELi4ELNS_13LoopSchedulerE1ELNS_15PipelineVersionE0EDF16_DF16_EELb0EEEvNT_8ArgumentE,comdat
	.protected	_ZN2ck27kernel_gemm_xdl_cshuffle_v1INS_43GridwiseGemm_k0mk1_k0nk1_mn_xdl_cshuffle_v1INS_13tensor_layout4gemm8RowMajorES4_S4_DF16_DF16_fDF16_DF16_NS_16tensor_operation12element_wise11PassThroughES7_S7_LNS5_6device18GemmSpecializationE0ELNS_25InMemoryDataOperationEnumE0ELi1ELi256ELi256ELi128ELi32ELi8ELi2ELi16ELi16ELi8ELi2ENS_8SequenceIJLi4ELi64ELi1EEEENSB_IJLi1ELi0ELi2EEEESD_Li2ELi8ELi8ELb0ELi1ENSB_IJLi8ELi32ELi1EEEENSB_IJLi0ELi2ELi1EEEESF_Li1ELi4ELi2ELb0ELi0ELi1ELi2ENSB_IJLi1ELi16ELi1ELi16EEEELi4ELNS_13LoopSchedulerE1ELNS_15PipelineVersionE0EDF16_DF16_EELb0EEEvNT_8ArgumentE ; -- Begin function _ZN2ck27kernel_gemm_xdl_cshuffle_v1INS_43GridwiseGemm_k0mk1_k0nk1_mn_xdl_cshuffle_v1INS_13tensor_layout4gemm8RowMajorES4_S4_DF16_DF16_fDF16_DF16_NS_16tensor_operation12element_wise11PassThroughES7_S7_LNS5_6device18GemmSpecializationE0ELNS_25InMemoryDataOperationEnumE0ELi1ELi256ELi256ELi128ELi32ELi8ELi2ELi16ELi16ELi8ELi2ENS_8SequenceIJLi4ELi64ELi1EEEENSB_IJLi1ELi0ELi2EEEESD_Li2ELi8ELi8ELb0ELi1ENSB_IJLi8ELi32ELi1EEEENSB_IJLi0ELi2ELi1EEEESF_Li1ELi4ELi2ELb0ELi0ELi1ELi2ENSB_IJLi1ELi16ELi1ELi16EEEELi4ELNS_13LoopSchedulerE1ELNS_15PipelineVersionE0EDF16_DF16_EELb0EEEvNT_8ArgumentE
	.globl	_ZN2ck27kernel_gemm_xdl_cshuffle_v1INS_43GridwiseGemm_k0mk1_k0nk1_mn_xdl_cshuffle_v1INS_13tensor_layout4gemm8RowMajorES4_S4_DF16_DF16_fDF16_DF16_NS_16tensor_operation12element_wise11PassThroughES7_S7_LNS5_6device18GemmSpecializationE0ELNS_25InMemoryDataOperationEnumE0ELi1ELi256ELi256ELi128ELi32ELi8ELi2ELi16ELi16ELi8ELi2ENS_8SequenceIJLi4ELi64ELi1EEEENSB_IJLi1ELi0ELi2EEEESD_Li2ELi8ELi8ELb0ELi1ENSB_IJLi8ELi32ELi1EEEENSB_IJLi0ELi2ELi1EEEESF_Li1ELi4ELi2ELb0ELi0ELi1ELi2ENSB_IJLi1ELi16ELi1ELi16EEEELi4ELNS_13LoopSchedulerE1ELNS_15PipelineVersionE0EDF16_DF16_EELb0EEEvNT_8ArgumentE
	.p2align	8
	.type	_ZN2ck27kernel_gemm_xdl_cshuffle_v1INS_43GridwiseGemm_k0mk1_k0nk1_mn_xdl_cshuffle_v1INS_13tensor_layout4gemm8RowMajorES4_S4_DF16_DF16_fDF16_DF16_NS_16tensor_operation12element_wise11PassThroughES7_S7_LNS5_6device18GemmSpecializationE0ELNS_25InMemoryDataOperationEnumE0ELi1ELi256ELi256ELi128ELi32ELi8ELi2ELi16ELi16ELi8ELi2ENS_8SequenceIJLi4ELi64ELi1EEEENSB_IJLi1ELi0ELi2EEEESD_Li2ELi8ELi8ELb0ELi1ENSB_IJLi8ELi32ELi1EEEENSB_IJLi0ELi2ELi1EEEESF_Li1ELi4ELi2ELb0ELi0ELi1ELi2ENSB_IJLi1ELi16ELi1ELi16EEEELi4ELNS_13LoopSchedulerE1ELNS_15PipelineVersionE0EDF16_DF16_EELb0EEEvNT_8ArgumentE,@function
_ZN2ck27kernel_gemm_xdl_cshuffle_v1INS_43GridwiseGemm_k0mk1_k0nk1_mn_xdl_cshuffle_v1INS_13tensor_layout4gemm8RowMajorES4_S4_DF16_DF16_fDF16_DF16_NS_16tensor_operation12element_wise11PassThroughES7_S7_LNS5_6device18GemmSpecializationE0ELNS_25InMemoryDataOperationEnumE0ELi1ELi256ELi256ELi128ELi32ELi8ELi2ELi16ELi16ELi8ELi2ENS_8SequenceIJLi4ELi64ELi1EEEENSB_IJLi1ELi0ELi2EEEESD_Li2ELi8ELi8ELb0ELi1ENSB_IJLi8ELi32ELi1EEEENSB_IJLi0ELi2ELi1EEEESF_Li1ELi4ELi2ELb0ELi0ELi1ELi2ENSB_IJLi1ELi16ELi1ELi16EEEELi4ELNS_13LoopSchedulerE1ELNS_15PipelineVersionE0EDF16_DF16_EELb0EEEvNT_8ArgumentE: ; @_ZN2ck27kernel_gemm_xdl_cshuffle_v1INS_43GridwiseGemm_k0mk1_k0nk1_mn_xdl_cshuffle_v1INS_13tensor_layout4gemm8RowMajorES4_S4_DF16_DF16_fDF16_DF16_NS_16tensor_operation12element_wise11PassThroughES7_S7_LNS5_6device18GemmSpecializationE0ELNS_25InMemoryDataOperationEnumE0ELi1ELi256ELi256ELi128ELi32ELi8ELi2ELi16ELi16ELi8ELi2ENS_8SequenceIJLi4ELi64ELi1EEEENSB_IJLi1ELi0ELi2EEEESD_Li2ELi8ELi8ELb0ELi1ENSB_IJLi8ELi32ELi1EEEENSB_IJLi0ELi2ELi1EEEESF_Li1ELi4ELi2ELb0ELi0ELi1ELi2ENSB_IJLi1ELi16ELi1ELi16EEEELi4ELNS_13LoopSchedulerE1ELNS_15PipelineVersionE0EDF16_DF16_EELb0EEEvNT_8ArgumentE
; %bb.0:
	s_endpgm
	.section	.rodata,"a",@progbits
	.p2align	6, 0x0
	.amdhsa_kernel _ZN2ck27kernel_gemm_xdl_cshuffle_v1INS_43GridwiseGemm_k0mk1_k0nk1_mn_xdl_cshuffle_v1INS_13tensor_layout4gemm8RowMajorES4_S4_DF16_DF16_fDF16_DF16_NS_16tensor_operation12element_wise11PassThroughES7_S7_LNS5_6device18GemmSpecializationE0ELNS_25InMemoryDataOperationEnumE0ELi1ELi256ELi256ELi128ELi32ELi8ELi2ELi16ELi16ELi8ELi2ENS_8SequenceIJLi4ELi64ELi1EEEENSB_IJLi1ELi0ELi2EEEESD_Li2ELi8ELi8ELb0ELi1ENSB_IJLi8ELi32ELi1EEEENSB_IJLi0ELi2ELi1EEEESF_Li1ELi4ELi2ELb0ELi0ELi1ELi2ENSB_IJLi1ELi16ELi1ELi16EEEELi4ELNS_13LoopSchedulerE1ELNS_15PipelineVersionE0EDF16_DF16_EELb0EEEvNT_8ArgumentE
		.amdhsa_group_segment_fixed_size 0
		.amdhsa_private_segment_fixed_size 0
		.amdhsa_kernarg_size 96
		.amdhsa_user_sgpr_count 2
		.amdhsa_user_sgpr_dispatch_ptr 0
		.amdhsa_user_sgpr_queue_ptr 0
		.amdhsa_user_sgpr_kernarg_segment_ptr 1
		.amdhsa_user_sgpr_dispatch_id 0
		.amdhsa_user_sgpr_kernarg_preload_length 0
		.amdhsa_user_sgpr_kernarg_preload_offset 0
		.amdhsa_user_sgpr_private_segment_size 0
		.amdhsa_uses_dynamic_stack 0
		.amdhsa_enable_private_segment 0
		.amdhsa_system_sgpr_workgroup_id_x 1
		.amdhsa_system_sgpr_workgroup_id_y 0
		.amdhsa_system_sgpr_workgroup_id_z 0
		.amdhsa_system_sgpr_workgroup_info 0
		.amdhsa_system_vgpr_workitem_id 0
		.amdhsa_next_free_vgpr 1
		.amdhsa_next_free_sgpr 0
		.amdhsa_accum_offset 4
		.amdhsa_reserve_vcc 0
		.amdhsa_float_round_mode_32 0
		.amdhsa_float_round_mode_16_64 0
		.amdhsa_float_denorm_mode_32 3
		.amdhsa_float_denorm_mode_16_64 3
		.amdhsa_dx10_clamp 1
		.amdhsa_ieee_mode 1
		.amdhsa_fp16_overflow 0
		.amdhsa_tg_split 0
		.amdhsa_exception_fp_ieee_invalid_op 0
		.amdhsa_exception_fp_denorm_src 0
		.amdhsa_exception_fp_ieee_div_zero 0
		.amdhsa_exception_fp_ieee_overflow 0
		.amdhsa_exception_fp_ieee_underflow 0
		.amdhsa_exception_fp_ieee_inexact 0
		.amdhsa_exception_int_div_zero 0
	.end_amdhsa_kernel
	.section	.text._ZN2ck27kernel_gemm_xdl_cshuffle_v1INS_43GridwiseGemm_k0mk1_k0nk1_mn_xdl_cshuffle_v1INS_13tensor_layout4gemm8RowMajorES4_S4_DF16_DF16_fDF16_DF16_NS_16tensor_operation12element_wise11PassThroughES7_S7_LNS5_6device18GemmSpecializationE0ELNS_25InMemoryDataOperationEnumE0ELi1ELi256ELi256ELi128ELi32ELi8ELi2ELi16ELi16ELi8ELi2ENS_8SequenceIJLi4ELi64ELi1EEEENSB_IJLi1ELi0ELi2EEEESD_Li2ELi8ELi8ELb0ELi1ENSB_IJLi8ELi32ELi1EEEENSB_IJLi0ELi2ELi1EEEESF_Li1ELi4ELi2ELb0ELi0ELi1ELi2ENSB_IJLi1ELi16ELi1ELi16EEEELi4ELNS_13LoopSchedulerE1ELNS_15PipelineVersionE0EDF16_DF16_EELb0EEEvNT_8ArgumentE,"axG",@progbits,_ZN2ck27kernel_gemm_xdl_cshuffle_v1INS_43GridwiseGemm_k0mk1_k0nk1_mn_xdl_cshuffle_v1INS_13tensor_layout4gemm8RowMajorES4_S4_DF16_DF16_fDF16_DF16_NS_16tensor_operation12element_wise11PassThroughES7_S7_LNS5_6device18GemmSpecializationE0ELNS_25InMemoryDataOperationEnumE0ELi1ELi256ELi256ELi128ELi32ELi8ELi2ELi16ELi16ELi8ELi2ENS_8SequenceIJLi4ELi64ELi1EEEENSB_IJLi1ELi0ELi2EEEESD_Li2ELi8ELi8ELb0ELi1ENSB_IJLi8ELi32ELi1EEEENSB_IJLi0ELi2ELi1EEEESF_Li1ELi4ELi2ELb0ELi0ELi1ELi2ENSB_IJLi1ELi16ELi1ELi16EEEELi4ELNS_13LoopSchedulerE1ELNS_15PipelineVersionE0EDF16_DF16_EELb0EEEvNT_8ArgumentE,comdat
.Lfunc_end4:
	.size	_ZN2ck27kernel_gemm_xdl_cshuffle_v1INS_43GridwiseGemm_k0mk1_k0nk1_mn_xdl_cshuffle_v1INS_13tensor_layout4gemm8RowMajorES4_S4_DF16_DF16_fDF16_DF16_NS_16tensor_operation12element_wise11PassThroughES7_S7_LNS5_6device18GemmSpecializationE0ELNS_25InMemoryDataOperationEnumE0ELi1ELi256ELi256ELi128ELi32ELi8ELi2ELi16ELi16ELi8ELi2ENS_8SequenceIJLi4ELi64ELi1EEEENSB_IJLi1ELi0ELi2EEEESD_Li2ELi8ELi8ELb0ELi1ENSB_IJLi8ELi32ELi1EEEENSB_IJLi0ELi2ELi1EEEESF_Li1ELi4ELi2ELb0ELi0ELi1ELi2ENSB_IJLi1ELi16ELi1ELi16EEEELi4ELNS_13LoopSchedulerE1ELNS_15PipelineVersionE0EDF16_DF16_EELb0EEEvNT_8ArgumentE, .Lfunc_end4-_ZN2ck27kernel_gemm_xdl_cshuffle_v1INS_43GridwiseGemm_k0mk1_k0nk1_mn_xdl_cshuffle_v1INS_13tensor_layout4gemm8RowMajorES4_S4_DF16_DF16_fDF16_DF16_NS_16tensor_operation12element_wise11PassThroughES7_S7_LNS5_6device18GemmSpecializationE0ELNS_25InMemoryDataOperationEnumE0ELi1ELi256ELi256ELi128ELi32ELi8ELi2ELi16ELi16ELi8ELi2ENS_8SequenceIJLi4ELi64ELi1EEEENSB_IJLi1ELi0ELi2EEEESD_Li2ELi8ELi8ELb0ELi1ENSB_IJLi8ELi32ELi1EEEENSB_IJLi0ELi2ELi1EEEESF_Li1ELi4ELi2ELb0ELi0ELi1ELi2ENSB_IJLi1ELi16ELi1ELi16EEEELi4ELNS_13LoopSchedulerE1ELNS_15PipelineVersionE0EDF16_DF16_EELb0EEEvNT_8ArgumentE
                                        ; -- End function
	.set _ZN2ck27kernel_gemm_xdl_cshuffle_v1INS_43GridwiseGemm_k0mk1_k0nk1_mn_xdl_cshuffle_v1INS_13tensor_layout4gemm8RowMajorES4_S4_DF16_DF16_fDF16_DF16_NS_16tensor_operation12element_wise11PassThroughES7_S7_LNS5_6device18GemmSpecializationE0ELNS_25InMemoryDataOperationEnumE0ELi1ELi256ELi256ELi128ELi32ELi8ELi2ELi16ELi16ELi8ELi2ENS_8SequenceIJLi4ELi64ELi1EEEENSB_IJLi1ELi0ELi2EEEESD_Li2ELi8ELi8ELb0ELi1ENSB_IJLi8ELi32ELi1EEEENSB_IJLi0ELi2ELi1EEEESF_Li1ELi4ELi2ELb0ELi0ELi1ELi2ENSB_IJLi1ELi16ELi1ELi16EEEELi4ELNS_13LoopSchedulerE1ELNS_15PipelineVersionE0EDF16_DF16_EELb0EEEvNT_8ArgumentE.num_vgpr, 0
	.set _ZN2ck27kernel_gemm_xdl_cshuffle_v1INS_43GridwiseGemm_k0mk1_k0nk1_mn_xdl_cshuffle_v1INS_13tensor_layout4gemm8RowMajorES4_S4_DF16_DF16_fDF16_DF16_NS_16tensor_operation12element_wise11PassThroughES7_S7_LNS5_6device18GemmSpecializationE0ELNS_25InMemoryDataOperationEnumE0ELi1ELi256ELi256ELi128ELi32ELi8ELi2ELi16ELi16ELi8ELi2ENS_8SequenceIJLi4ELi64ELi1EEEENSB_IJLi1ELi0ELi2EEEESD_Li2ELi8ELi8ELb0ELi1ENSB_IJLi8ELi32ELi1EEEENSB_IJLi0ELi2ELi1EEEESF_Li1ELi4ELi2ELb0ELi0ELi1ELi2ENSB_IJLi1ELi16ELi1ELi16EEEELi4ELNS_13LoopSchedulerE1ELNS_15PipelineVersionE0EDF16_DF16_EELb0EEEvNT_8ArgumentE.num_agpr, 0
	.set _ZN2ck27kernel_gemm_xdl_cshuffle_v1INS_43GridwiseGemm_k0mk1_k0nk1_mn_xdl_cshuffle_v1INS_13tensor_layout4gemm8RowMajorES4_S4_DF16_DF16_fDF16_DF16_NS_16tensor_operation12element_wise11PassThroughES7_S7_LNS5_6device18GemmSpecializationE0ELNS_25InMemoryDataOperationEnumE0ELi1ELi256ELi256ELi128ELi32ELi8ELi2ELi16ELi16ELi8ELi2ENS_8SequenceIJLi4ELi64ELi1EEEENSB_IJLi1ELi0ELi2EEEESD_Li2ELi8ELi8ELb0ELi1ENSB_IJLi8ELi32ELi1EEEENSB_IJLi0ELi2ELi1EEEESF_Li1ELi4ELi2ELb0ELi0ELi1ELi2ENSB_IJLi1ELi16ELi1ELi16EEEELi4ELNS_13LoopSchedulerE1ELNS_15PipelineVersionE0EDF16_DF16_EELb0EEEvNT_8ArgumentE.numbered_sgpr, 0
	.set _ZN2ck27kernel_gemm_xdl_cshuffle_v1INS_43GridwiseGemm_k0mk1_k0nk1_mn_xdl_cshuffle_v1INS_13tensor_layout4gemm8RowMajorES4_S4_DF16_DF16_fDF16_DF16_NS_16tensor_operation12element_wise11PassThroughES7_S7_LNS5_6device18GemmSpecializationE0ELNS_25InMemoryDataOperationEnumE0ELi1ELi256ELi256ELi128ELi32ELi8ELi2ELi16ELi16ELi8ELi2ENS_8SequenceIJLi4ELi64ELi1EEEENSB_IJLi1ELi0ELi2EEEESD_Li2ELi8ELi8ELb0ELi1ENSB_IJLi8ELi32ELi1EEEENSB_IJLi0ELi2ELi1EEEESF_Li1ELi4ELi2ELb0ELi0ELi1ELi2ENSB_IJLi1ELi16ELi1ELi16EEEELi4ELNS_13LoopSchedulerE1ELNS_15PipelineVersionE0EDF16_DF16_EELb0EEEvNT_8ArgumentE.num_named_barrier, 0
	.set _ZN2ck27kernel_gemm_xdl_cshuffle_v1INS_43GridwiseGemm_k0mk1_k0nk1_mn_xdl_cshuffle_v1INS_13tensor_layout4gemm8RowMajorES4_S4_DF16_DF16_fDF16_DF16_NS_16tensor_operation12element_wise11PassThroughES7_S7_LNS5_6device18GemmSpecializationE0ELNS_25InMemoryDataOperationEnumE0ELi1ELi256ELi256ELi128ELi32ELi8ELi2ELi16ELi16ELi8ELi2ENS_8SequenceIJLi4ELi64ELi1EEEENSB_IJLi1ELi0ELi2EEEESD_Li2ELi8ELi8ELb0ELi1ENSB_IJLi8ELi32ELi1EEEENSB_IJLi0ELi2ELi1EEEESF_Li1ELi4ELi2ELb0ELi0ELi1ELi2ENSB_IJLi1ELi16ELi1ELi16EEEELi4ELNS_13LoopSchedulerE1ELNS_15PipelineVersionE0EDF16_DF16_EELb0EEEvNT_8ArgumentE.private_seg_size, 0
	.set _ZN2ck27kernel_gemm_xdl_cshuffle_v1INS_43GridwiseGemm_k0mk1_k0nk1_mn_xdl_cshuffle_v1INS_13tensor_layout4gemm8RowMajorES4_S4_DF16_DF16_fDF16_DF16_NS_16tensor_operation12element_wise11PassThroughES7_S7_LNS5_6device18GemmSpecializationE0ELNS_25InMemoryDataOperationEnumE0ELi1ELi256ELi256ELi128ELi32ELi8ELi2ELi16ELi16ELi8ELi2ENS_8SequenceIJLi4ELi64ELi1EEEENSB_IJLi1ELi0ELi2EEEESD_Li2ELi8ELi8ELb0ELi1ENSB_IJLi8ELi32ELi1EEEENSB_IJLi0ELi2ELi1EEEESF_Li1ELi4ELi2ELb0ELi0ELi1ELi2ENSB_IJLi1ELi16ELi1ELi16EEEELi4ELNS_13LoopSchedulerE1ELNS_15PipelineVersionE0EDF16_DF16_EELb0EEEvNT_8ArgumentE.uses_vcc, 0
	.set _ZN2ck27kernel_gemm_xdl_cshuffle_v1INS_43GridwiseGemm_k0mk1_k0nk1_mn_xdl_cshuffle_v1INS_13tensor_layout4gemm8RowMajorES4_S4_DF16_DF16_fDF16_DF16_NS_16tensor_operation12element_wise11PassThroughES7_S7_LNS5_6device18GemmSpecializationE0ELNS_25InMemoryDataOperationEnumE0ELi1ELi256ELi256ELi128ELi32ELi8ELi2ELi16ELi16ELi8ELi2ENS_8SequenceIJLi4ELi64ELi1EEEENSB_IJLi1ELi0ELi2EEEESD_Li2ELi8ELi8ELb0ELi1ENSB_IJLi8ELi32ELi1EEEENSB_IJLi0ELi2ELi1EEEESF_Li1ELi4ELi2ELb0ELi0ELi1ELi2ENSB_IJLi1ELi16ELi1ELi16EEEELi4ELNS_13LoopSchedulerE1ELNS_15PipelineVersionE0EDF16_DF16_EELb0EEEvNT_8ArgumentE.uses_flat_scratch, 0
	.set _ZN2ck27kernel_gemm_xdl_cshuffle_v1INS_43GridwiseGemm_k0mk1_k0nk1_mn_xdl_cshuffle_v1INS_13tensor_layout4gemm8RowMajorES4_S4_DF16_DF16_fDF16_DF16_NS_16tensor_operation12element_wise11PassThroughES7_S7_LNS5_6device18GemmSpecializationE0ELNS_25InMemoryDataOperationEnumE0ELi1ELi256ELi256ELi128ELi32ELi8ELi2ELi16ELi16ELi8ELi2ENS_8SequenceIJLi4ELi64ELi1EEEENSB_IJLi1ELi0ELi2EEEESD_Li2ELi8ELi8ELb0ELi1ENSB_IJLi8ELi32ELi1EEEENSB_IJLi0ELi2ELi1EEEESF_Li1ELi4ELi2ELb0ELi0ELi1ELi2ENSB_IJLi1ELi16ELi1ELi16EEEELi4ELNS_13LoopSchedulerE1ELNS_15PipelineVersionE0EDF16_DF16_EELb0EEEvNT_8ArgumentE.has_dyn_sized_stack, 0
	.set _ZN2ck27kernel_gemm_xdl_cshuffle_v1INS_43GridwiseGemm_k0mk1_k0nk1_mn_xdl_cshuffle_v1INS_13tensor_layout4gemm8RowMajorES4_S4_DF16_DF16_fDF16_DF16_NS_16tensor_operation12element_wise11PassThroughES7_S7_LNS5_6device18GemmSpecializationE0ELNS_25InMemoryDataOperationEnumE0ELi1ELi256ELi256ELi128ELi32ELi8ELi2ELi16ELi16ELi8ELi2ENS_8SequenceIJLi4ELi64ELi1EEEENSB_IJLi1ELi0ELi2EEEESD_Li2ELi8ELi8ELb0ELi1ENSB_IJLi8ELi32ELi1EEEENSB_IJLi0ELi2ELi1EEEESF_Li1ELi4ELi2ELb0ELi0ELi1ELi2ENSB_IJLi1ELi16ELi1ELi16EEEELi4ELNS_13LoopSchedulerE1ELNS_15PipelineVersionE0EDF16_DF16_EELb0EEEvNT_8ArgumentE.has_recursion, 0
	.set _ZN2ck27kernel_gemm_xdl_cshuffle_v1INS_43GridwiseGemm_k0mk1_k0nk1_mn_xdl_cshuffle_v1INS_13tensor_layout4gemm8RowMajorES4_S4_DF16_DF16_fDF16_DF16_NS_16tensor_operation12element_wise11PassThroughES7_S7_LNS5_6device18GemmSpecializationE0ELNS_25InMemoryDataOperationEnumE0ELi1ELi256ELi256ELi128ELi32ELi8ELi2ELi16ELi16ELi8ELi2ENS_8SequenceIJLi4ELi64ELi1EEEENSB_IJLi1ELi0ELi2EEEESD_Li2ELi8ELi8ELb0ELi1ENSB_IJLi8ELi32ELi1EEEENSB_IJLi0ELi2ELi1EEEESF_Li1ELi4ELi2ELb0ELi0ELi1ELi2ENSB_IJLi1ELi16ELi1ELi16EEEELi4ELNS_13LoopSchedulerE1ELNS_15PipelineVersionE0EDF16_DF16_EELb0EEEvNT_8ArgumentE.has_indirect_call, 0
	.section	.AMDGPU.csdata,"",@progbits
; Kernel info:
; codeLenInByte = 4
; TotalNumSgprs: 6
; NumVgprs: 0
; NumAgprs: 0
; TotalNumVgprs: 0
; ScratchSize: 0
; MemoryBound: 0
; FloatMode: 240
; IeeeMode: 1
; LDSByteSize: 0 bytes/workgroup (compile time only)
; SGPRBlocks: 0
; VGPRBlocks: 0
; NumSGPRsForWavesPerEU: 6
; NumVGPRsForWavesPerEU: 1
; AccumOffset: 4
; Occupancy: 8
; WaveLimiterHint : 0
; COMPUTE_PGM_RSRC2:SCRATCH_EN: 0
; COMPUTE_PGM_RSRC2:USER_SGPR: 2
; COMPUTE_PGM_RSRC2:TRAP_HANDLER: 0
; COMPUTE_PGM_RSRC2:TGID_X_EN: 1
; COMPUTE_PGM_RSRC2:TGID_Y_EN: 0
; COMPUTE_PGM_RSRC2:TGID_Z_EN: 0
; COMPUTE_PGM_RSRC2:TIDIG_COMP_CNT: 0
; COMPUTE_PGM_RSRC3_GFX90A:ACCUM_OFFSET: 0
; COMPUTE_PGM_RSRC3_GFX90A:TG_SPLIT: 0
	.section	.text._ZN2ck17naive_gemm_kernelINS_13tensor_layout4gemm8RowMajorES3_S3_DF16_DF16_DF16_fNS_16tensor_operation12element_wise11PassThroughES6_S6_DF16_DF16_EEvPKT2_PKT3_PT4_iiiT6_T7_T8_,"axG",@progbits,_ZN2ck17naive_gemm_kernelINS_13tensor_layout4gemm8RowMajorES3_S3_DF16_DF16_DF16_fNS_16tensor_operation12element_wise11PassThroughES6_S6_DF16_DF16_EEvPKT2_PKT3_PT4_iiiT6_T7_T8_,comdat
	.protected	_ZN2ck17naive_gemm_kernelINS_13tensor_layout4gemm8RowMajorES3_S3_DF16_DF16_DF16_fNS_16tensor_operation12element_wise11PassThroughES6_S6_DF16_DF16_EEvPKT2_PKT3_PT4_iiiT6_T7_T8_ ; -- Begin function _ZN2ck17naive_gemm_kernelINS_13tensor_layout4gemm8RowMajorES3_S3_DF16_DF16_DF16_fNS_16tensor_operation12element_wise11PassThroughES6_S6_DF16_DF16_EEvPKT2_PKT3_PT4_iiiT6_T7_T8_
	.globl	_ZN2ck17naive_gemm_kernelINS_13tensor_layout4gemm8RowMajorES3_S3_DF16_DF16_DF16_fNS_16tensor_operation12element_wise11PassThroughES6_S6_DF16_DF16_EEvPKT2_PKT3_PT4_iiiT6_T7_T8_
	.p2align	8
	.type	_ZN2ck17naive_gemm_kernelINS_13tensor_layout4gemm8RowMajorES3_S3_DF16_DF16_DF16_fNS_16tensor_operation12element_wise11PassThroughES6_S6_DF16_DF16_EEvPKT2_PKT3_PT4_iiiT6_T7_T8_,@function
_ZN2ck17naive_gemm_kernelINS_13tensor_layout4gemm8RowMajorES3_S3_DF16_DF16_DF16_fNS_16tensor_operation12element_wise11PassThroughES6_S6_DF16_DF16_EEvPKT2_PKT3_PT4_iiiT6_T7_T8_: ; @_ZN2ck17naive_gemm_kernelINS_13tensor_layout4gemm8RowMajorES3_S3_DF16_DF16_DF16_fNS_16tensor_operation12element_wise11PassThroughES6_S6_DF16_DF16_EEvPKT2_PKT3_PT4_iiiT6_T7_T8_
; %bb.0:
	s_load_dword s8, s[0:1], 0x34
	s_load_dwordx4 s[4:7], s[0:1], 0x18
	v_and_b32_e32 v1, 0x3ff, v0
	v_bfe_u32 v0, v0, 10, 10
	s_waitcnt lgkmcnt(0)
	s_lshr_b32 s7, s8, 16
	s_and_b32 s8, s8, 0xffff
	s_mul_i32 s2, s2, s8
	s_mul_i32 s3, s3, s7
	v_add_u32_e32 v1, s2, v1
	v_add_u32_e32 v0, s3, v0
	v_cmp_gt_i32_e32 vcc, s4, v1
	v_cmp_gt_i32_e64 s[2:3], s5, v0
	s_and_b64 s[2:3], vcc, s[2:3]
	s_and_saveexec_b64 s[8:9], s[2:3]
	s_cbranch_execz .LBB5_7
; %bb.1:
	s_load_dwordx2 s[8:9], s[0:1], 0x10
	s_cmp_lt_i32 s6, 1
	s_cbranch_scc1 .LBB5_5
; %bb.2:
	s_load_dwordx4 s[0:3], s[0:1], 0x0
	v_mul_lo_u32 v2, v1, s6
	v_ashrrev_i32_e32 v3, 31, v2
	v_mov_b32_e32 v6, 0
	v_mov_b32_e32 v4, v0
	s_waitcnt lgkmcnt(0)
	v_lshl_add_u64 v[2:3], v[2:3], 1, s[0:1]
.LBB5_3:                                ; =>This Inner Loop Header: Depth=1
	v_ashrrev_i32_e32 v5, 31, v4
	v_lshl_add_u64 v[8:9], v[4:5], 1, s[2:3]
	global_load_ushort v7, v[2:3], off
	global_load_ushort v5, v[8:9], off
	s_add_i32 s6, s6, -1
	v_lshl_add_u64 v[2:3], v[2:3], 0, 2
	v_add_u32_e32 v4, s5, v4
	s_cmp_eq_u32 s6, 0
	s_waitcnt vmcnt(0)
	v_fma_mix_f32 v6, v7, v5, v6 op_sel_hi:[1,1,0]
	s_cbranch_scc0 .LBB5_3
; %bb.4:
	v_cvt_f16_f32_e32 v2, v6
	s_branch .LBB5_6
.LBB5_5:
	v_mov_b32_e32 v2, 0
.LBB5_6:
	v_mad_u64_u32 v[0:1], s[0:1], v1, s5, v[0:1]
	v_ashrrev_i32_e32 v1, 31, v0
	s_waitcnt lgkmcnt(0)
	v_lshl_add_u64 v[0:1], v[0:1], 1, s[8:9]
	global_store_short v[0:1], v2, off
.LBB5_7:
	s_endpgm
	.section	.rodata,"a",@progbits
	.p2align	6, 0x0
	.amdhsa_kernel _ZN2ck17naive_gemm_kernelINS_13tensor_layout4gemm8RowMajorES3_S3_DF16_DF16_DF16_fNS_16tensor_operation12element_wise11PassThroughES6_S6_DF16_DF16_EEvPKT2_PKT3_PT4_iiiT6_T7_T8_
		.amdhsa_group_segment_fixed_size 0
		.amdhsa_private_segment_fixed_size 0
		.amdhsa_kernarg_size 296
		.amdhsa_user_sgpr_count 2
		.amdhsa_user_sgpr_dispatch_ptr 0
		.amdhsa_user_sgpr_queue_ptr 0
		.amdhsa_user_sgpr_kernarg_segment_ptr 1
		.amdhsa_user_sgpr_dispatch_id 0
		.amdhsa_user_sgpr_kernarg_preload_length 0
		.amdhsa_user_sgpr_kernarg_preload_offset 0
		.amdhsa_user_sgpr_private_segment_size 0
		.amdhsa_uses_dynamic_stack 0
		.amdhsa_enable_private_segment 0
		.amdhsa_system_sgpr_workgroup_id_x 1
		.amdhsa_system_sgpr_workgroup_id_y 1
		.amdhsa_system_sgpr_workgroup_id_z 0
		.amdhsa_system_sgpr_workgroup_info 0
		.amdhsa_system_vgpr_workitem_id 1
		.amdhsa_next_free_vgpr 10
		.amdhsa_next_free_sgpr 10
		.amdhsa_accum_offset 12
		.amdhsa_reserve_vcc 1
		.amdhsa_float_round_mode_32 0
		.amdhsa_float_round_mode_16_64 0
		.amdhsa_float_denorm_mode_32 3
		.amdhsa_float_denorm_mode_16_64 3
		.amdhsa_dx10_clamp 1
		.amdhsa_ieee_mode 1
		.amdhsa_fp16_overflow 0
		.amdhsa_tg_split 0
		.amdhsa_exception_fp_ieee_invalid_op 0
		.amdhsa_exception_fp_denorm_src 0
		.amdhsa_exception_fp_ieee_div_zero 0
		.amdhsa_exception_fp_ieee_overflow 0
		.amdhsa_exception_fp_ieee_underflow 0
		.amdhsa_exception_fp_ieee_inexact 0
		.amdhsa_exception_int_div_zero 0
	.end_amdhsa_kernel
	.section	.text._ZN2ck17naive_gemm_kernelINS_13tensor_layout4gemm8RowMajorES3_S3_DF16_DF16_DF16_fNS_16tensor_operation12element_wise11PassThroughES6_S6_DF16_DF16_EEvPKT2_PKT3_PT4_iiiT6_T7_T8_,"axG",@progbits,_ZN2ck17naive_gemm_kernelINS_13tensor_layout4gemm8RowMajorES3_S3_DF16_DF16_DF16_fNS_16tensor_operation12element_wise11PassThroughES6_S6_DF16_DF16_EEvPKT2_PKT3_PT4_iiiT6_T7_T8_,comdat
.Lfunc_end5:
	.size	_ZN2ck17naive_gemm_kernelINS_13tensor_layout4gemm8RowMajorES3_S3_DF16_DF16_DF16_fNS_16tensor_operation12element_wise11PassThroughES6_S6_DF16_DF16_EEvPKT2_PKT3_PT4_iiiT6_T7_T8_, .Lfunc_end5-_ZN2ck17naive_gemm_kernelINS_13tensor_layout4gemm8RowMajorES3_S3_DF16_DF16_DF16_fNS_16tensor_operation12element_wise11PassThroughES6_S6_DF16_DF16_EEvPKT2_PKT3_PT4_iiiT6_T7_T8_
                                        ; -- End function
	.set _ZN2ck17naive_gemm_kernelINS_13tensor_layout4gemm8RowMajorES3_S3_DF16_DF16_DF16_fNS_16tensor_operation12element_wise11PassThroughES6_S6_DF16_DF16_EEvPKT2_PKT3_PT4_iiiT6_T7_T8_.num_vgpr, 10
	.set _ZN2ck17naive_gemm_kernelINS_13tensor_layout4gemm8RowMajorES3_S3_DF16_DF16_DF16_fNS_16tensor_operation12element_wise11PassThroughES6_S6_DF16_DF16_EEvPKT2_PKT3_PT4_iiiT6_T7_T8_.num_agpr, 0
	.set _ZN2ck17naive_gemm_kernelINS_13tensor_layout4gemm8RowMajorES3_S3_DF16_DF16_DF16_fNS_16tensor_operation12element_wise11PassThroughES6_S6_DF16_DF16_EEvPKT2_PKT3_PT4_iiiT6_T7_T8_.numbered_sgpr, 10
	.set _ZN2ck17naive_gemm_kernelINS_13tensor_layout4gemm8RowMajorES3_S3_DF16_DF16_DF16_fNS_16tensor_operation12element_wise11PassThroughES6_S6_DF16_DF16_EEvPKT2_PKT3_PT4_iiiT6_T7_T8_.num_named_barrier, 0
	.set _ZN2ck17naive_gemm_kernelINS_13tensor_layout4gemm8RowMajorES3_S3_DF16_DF16_DF16_fNS_16tensor_operation12element_wise11PassThroughES6_S6_DF16_DF16_EEvPKT2_PKT3_PT4_iiiT6_T7_T8_.private_seg_size, 0
	.set _ZN2ck17naive_gemm_kernelINS_13tensor_layout4gemm8RowMajorES3_S3_DF16_DF16_DF16_fNS_16tensor_operation12element_wise11PassThroughES6_S6_DF16_DF16_EEvPKT2_PKT3_PT4_iiiT6_T7_T8_.uses_vcc, 1
	.set _ZN2ck17naive_gemm_kernelINS_13tensor_layout4gemm8RowMajorES3_S3_DF16_DF16_DF16_fNS_16tensor_operation12element_wise11PassThroughES6_S6_DF16_DF16_EEvPKT2_PKT3_PT4_iiiT6_T7_T8_.uses_flat_scratch, 0
	.set _ZN2ck17naive_gemm_kernelINS_13tensor_layout4gemm8RowMajorES3_S3_DF16_DF16_DF16_fNS_16tensor_operation12element_wise11PassThroughES6_S6_DF16_DF16_EEvPKT2_PKT3_PT4_iiiT6_T7_T8_.has_dyn_sized_stack, 0
	.set _ZN2ck17naive_gemm_kernelINS_13tensor_layout4gemm8RowMajorES3_S3_DF16_DF16_DF16_fNS_16tensor_operation12element_wise11PassThroughES6_S6_DF16_DF16_EEvPKT2_PKT3_PT4_iiiT6_T7_T8_.has_recursion, 0
	.set _ZN2ck17naive_gemm_kernelINS_13tensor_layout4gemm8RowMajorES3_S3_DF16_DF16_DF16_fNS_16tensor_operation12element_wise11PassThroughES6_S6_DF16_DF16_EEvPKT2_PKT3_PT4_iiiT6_T7_T8_.has_indirect_call, 0
	.section	.AMDGPU.csdata,"",@progbits
; Kernel info:
; codeLenInByte = 256
; TotalNumSgprs: 16
; NumVgprs: 10
; NumAgprs: 0
; TotalNumVgprs: 10
; ScratchSize: 0
; MemoryBound: 0
; FloatMode: 240
; IeeeMode: 1
; LDSByteSize: 0 bytes/workgroup (compile time only)
; SGPRBlocks: 1
; VGPRBlocks: 1
; NumSGPRsForWavesPerEU: 16
; NumVGPRsForWavesPerEU: 10
; AccumOffset: 12
; Occupancy: 8
; WaveLimiterHint : 0
; COMPUTE_PGM_RSRC2:SCRATCH_EN: 0
; COMPUTE_PGM_RSRC2:USER_SGPR: 2
; COMPUTE_PGM_RSRC2:TRAP_HANDLER: 0
; COMPUTE_PGM_RSRC2:TGID_X_EN: 1
; COMPUTE_PGM_RSRC2:TGID_Y_EN: 1
; COMPUTE_PGM_RSRC2:TGID_Z_EN: 0
; COMPUTE_PGM_RSRC2:TIDIG_COMP_CNT: 1
; COMPUTE_PGM_RSRC3_GFX90A:ACCUM_OFFSET: 2
; COMPUTE_PGM_RSRC3_GFX90A:TG_SPLIT: 0
	.section	.AMDGPU.gpr_maximums,"",@progbits
	.set amdgpu.max_num_vgpr, 0
	.set amdgpu.max_num_agpr, 0
	.set amdgpu.max_num_sgpr, 0
	.section	.AMDGPU.csdata,"",@progbits
	.type	__hip_cuid_17baeb6e1a579614,@object ; @__hip_cuid_17baeb6e1a579614
	.section	.bss,"aw",@nobits
	.globl	__hip_cuid_17baeb6e1a579614
__hip_cuid_17baeb6e1a579614:
	.byte	0                               ; 0x0
	.size	__hip_cuid_17baeb6e1a579614, 1

	.ident	"AMD clang version 22.0.0git (https://github.com/RadeonOpenCompute/llvm-project roc-7.2.4 26084 f58b06dce1f9c15707c5f808fd002e18c2accf7e)"
	.section	".note.GNU-stack","",@progbits
	.addrsig
	.addrsig_sym __hip_cuid_17baeb6e1a579614
	.amdgpu_metadata
---
amdhsa.kernels:
  - .agpr_count:     0
    .args:           []
    .group_segment_fixed_size: 0
    .kernarg_segment_align: 4
    .kernarg_segment_size: 0
    .language:       OpenCL C
    .language_version:
      - 2
      - 0
    .max_flat_workgroup_size: 1024
    .name:           _ZN2ckL12flush_icacheEv
    .private_segment_fixed_size: 0
    .sgpr_count:     6
    .sgpr_spill_count: 0
    .symbol:         _ZN2ckL12flush_icacheEv.kd
    .uniform_work_group_size: 1
    .uses_dynamic_stack: false
    .vgpr_count:     0
    .vgpr_spill_count: 0
    .wavefront_size: 64
  - .agpr_count:     0
    .args:
      - .offset:         0
        .size:           96
        .value_kind:     by_value
    .group_segment_fixed_size: 24624
    .kernarg_segment_align: 8
    .kernarg_segment_size: 96
    .language:       OpenCL C
    .language_version:
      - 2
      - 0
    .max_flat_workgroup_size: 256
    .name:           _ZN2ck27kernel_gemm_xdl_cshuffle_v1INS_43GridwiseGemm_k0mk1_k0nk1_mn_xdl_cshuffle_v1INS_13tensor_layout4gemm8RowMajorES4_S4_DF16_DF16_fDF16_DF16_NS_16tensor_operation12element_wise11PassThroughES7_S7_LNS5_6device18GemmSpecializationE0ELNS_25InMemoryDataOperationEnumE0ELi1ELi256ELi256ELi128ELi32ELi8ELi2ELi16ELi16ELi8ELi4ENS_8SequenceIJLi4ELi64ELi1EEEENSB_IJLi1ELi0ELi2EEEESD_Li2ELi8ELi8ELb0ELi1ENSB_IJLi8ELi32ELi1EEEENSB_IJLi0ELi2ELi1EEEESF_Li1ELi4ELi2ELb0ELi0ELi1ELi2ENSB_IJLi1ELi16ELi1ELi16EEEELi4ELNS_13LoopSchedulerE1ELNS_15PipelineVersionE0EDF16_DF16_EELb1EEEvNT_8ArgumentE
    .private_segment_fixed_size: 0
    .sgpr_count:     33
    .sgpr_spill_count: 0
    .symbol:         _ZN2ck27kernel_gemm_xdl_cshuffle_v1INS_43GridwiseGemm_k0mk1_k0nk1_mn_xdl_cshuffle_v1INS_13tensor_layout4gemm8RowMajorES4_S4_DF16_DF16_fDF16_DF16_NS_16tensor_operation12element_wise11PassThroughES7_S7_LNS5_6device18GemmSpecializationE0ELNS_25InMemoryDataOperationEnumE0ELi1ELi256ELi256ELi128ELi32ELi8ELi2ELi16ELi16ELi8ELi4ENS_8SequenceIJLi4ELi64ELi1EEEENSB_IJLi1ELi0ELi2EEEESD_Li2ELi8ELi8ELb0ELi1ENSB_IJLi8ELi32ELi1EEEENSB_IJLi0ELi2ELi1EEEESF_Li1ELi4ELi2ELb0ELi0ELi1ELi2ENSB_IJLi1ELi16ELi1ELi16EEEELi4ELNS_13LoopSchedulerE1ELNS_15PipelineVersionE0EDF16_DF16_EELb1EEEvNT_8ArgumentE.kd
    .uniform_work_group_size: 1
    .uses_dynamic_stack: false
    .vgpr_count:     218
    .vgpr_spill_count: 0
    .wavefront_size: 64
  - .agpr_count:     0
    .args:
      - .offset:         0
        .size:           96
        .value_kind:     by_value
    .group_segment_fixed_size: 24624
    .kernarg_segment_align: 8
    .kernarg_segment_size: 96
    .language:       OpenCL C
    .language_version:
      - 2
      - 0
    .max_flat_workgroup_size: 256
    .name:           _ZN2ck27kernel_gemm_xdl_cshuffle_v1INS_43GridwiseGemm_k0mk1_k0nk1_mn_xdl_cshuffle_v1INS_13tensor_layout4gemm8RowMajorES4_S4_DF16_DF16_fDF16_DF16_NS_16tensor_operation12element_wise11PassThroughES7_S7_LNS5_6device18GemmSpecializationE0ELNS_25InMemoryDataOperationEnumE0ELi1ELi256ELi256ELi128ELi32ELi8ELi2ELi16ELi16ELi8ELi4ENS_8SequenceIJLi4ELi64ELi1EEEENSB_IJLi1ELi0ELi2EEEESD_Li2ELi8ELi8ELb0ELi1ENSB_IJLi8ELi32ELi1EEEENSB_IJLi0ELi2ELi1EEEESF_Li1ELi4ELi2ELb0ELi0ELi1ELi2ENSB_IJLi1ELi16ELi1ELi16EEEELi4ELNS_13LoopSchedulerE1ELNS_15PipelineVersionE0EDF16_DF16_EELb0EEEvNT_8ArgumentE
    .private_segment_fixed_size: 0
    .sgpr_count:     29
    .sgpr_spill_count: 0
    .symbol:         _ZN2ck27kernel_gemm_xdl_cshuffle_v1INS_43GridwiseGemm_k0mk1_k0nk1_mn_xdl_cshuffle_v1INS_13tensor_layout4gemm8RowMajorES4_S4_DF16_DF16_fDF16_DF16_NS_16tensor_operation12element_wise11PassThroughES7_S7_LNS5_6device18GemmSpecializationE0ELNS_25InMemoryDataOperationEnumE0ELi1ELi256ELi256ELi128ELi32ELi8ELi2ELi16ELi16ELi8ELi4ENS_8SequenceIJLi4ELi64ELi1EEEENSB_IJLi1ELi0ELi2EEEESD_Li2ELi8ELi8ELb0ELi1ENSB_IJLi8ELi32ELi1EEEENSB_IJLi0ELi2ELi1EEEESF_Li1ELi4ELi2ELb0ELi0ELi1ELi2ENSB_IJLi1ELi16ELi1ELi16EEEELi4ELNS_13LoopSchedulerE1ELNS_15PipelineVersionE0EDF16_DF16_EELb0EEEvNT_8ArgumentE.kd
    .uniform_work_group_size: 1
    .uses_dynamic_stack: false
    .vgpr_count:     157
    .vgpr_spill_count: 0
    .wavefront_size: 64
  - .agpr_count:     0
    .args:
      - .offset:         0
        .size:           96
        .value_kind:     by_value
    .group_segment_fixed_size: 0
    .kernarg_segment_align: 8
    .kernarg_segment_size: 96
    .language:       OpenCL C
    .language_version:
      - 2
      - 0
    .max_flat_workgroup_size: 256
    .name:           _ZN2ck27kernel_gemm_xdl_cshuffle_v1INS_43GridwiseGemm_k0mk1_k0nk1_mn_xdl_cshuffle_v1INS_13tensor_layout4gemm8RowMajorES4_S4_DF16_DF16_fDF16_DF16_NS_16tensor_operation12element_wise11PassThroughES7_S7_LNS5_6device18GemmSpecializationE0ELNS_25InMemoryDataOperationEnumE0ELi1ELi256ELi256ELi128ELi32ELi8ELi2ELi16ELi16ELi8ELi2ENS_8SequenceIJLi4ELi64ELi1EEEENSB_IJLi1ELi0ELi2EEEESD_Li2ELi8ELi8ELb0ELi1ENSB_IJLi8ELi32ELi1EEEENSB_IJLi0ELi2ELi1EEEESF_Li1ELi4ELi2ELb0ELi0ELi1ELi2ENSB_IJLi1ELi16ELi1ELi16EEEELi4ELNS_13LoopSchedulerE1ELNS_15PipelineVersionE0EDF16_DF16_EELb1EEEvNT_8ArgumentE
    .private_segment_fixed_size: 0
    .sgpr_count:     6
    .sgpr_spill_count: 0
    .symbol:         _ZN2ck27kernel_gemm_xdl_cshuffle_v1INS_43GridwiseGemm_k0mk1_k0nk1_mn_xdl_cshuffle_v1INS_13tensor_layout4gemm8RowMajorES4_S4_DF16_DF16_fDF16_DF16_NS_16tensor_operation12element_wise11PassThroughES7_S7_LNS5_6device18GemmSpecializationE0ELNS_25InMemoryDataOperationEnumE0ELi1ELi256ELi256ELi128ELi32ELi8ELi2ELi16ELi16ELi8ELi2ENS_8SequenceIJLi4ELi64ELi1EEEENSB_IJLi1ELi0ELi2EEEESD_Li2ELi8ELi8ELb0ELi1ENSB_IJLi8ELi32ELi1EEEENSB_IJLi0ELi2ELi1EEEESF_Li1ELi4ELi2ELb0ELi0ELi1ELi2ENSB_IJLi1ELi16ELi1ELi16EEEELi4ELNS_13LoopSchedulerE1ELNS_15PipelineVersionE0EDF16_DF16_EELb1EEEvNT_8ArgumentE.kd
    .uniform_work_group_size: 1
    .uses_dynamic_stack: false
    .vgpr_count:     0
    .vgpr_spill_count: 0
    .wavefront_size: 64
  - .agpr_count:     0
    .args:
      - .offset:         0
        .size:           96
        .value_kind:     by_value
    .group_segment_fixed_size: 0
    .kernarg_segment_align: 8
    .kernarg_segment_size: 96
    .language:       OpenCL C
    .language_version:
      - 2
      - 0
    .max_flat_workgroup_size: 256
    .name:           _ZN2ck27kernel_gemm_xdl_cshuffle_v1INS_43GridwiseGemm_k0mk1_k0nk1_mn_xdl_cshuffle_v1INS_13tensor_layout4gemm8RowMajorES4_S4_DF16_DF16_fDF16_DF16_NS_16tensor_operation12element_wise11PassThroughES7_S7_LNS5_6device18GemmSpecializationE0ELNS_25InMemoryDataOperationEnumE0ELi1ELi256ELi256ELi128ELi32ELi8ELi2ELi16ELi16ELi8ELi2ENS_8SequenceIJLi4ELi64ELi1EEEENSB_IJLi1ELi0ELi2EEEESD_Li2ELi8ELi8ELb0ELi1ENSB_IJLi8ELi32ELi1EEEENSB_IJLi0ELi2ELi1EEEESF_Li1ELi4ELi2ELb0ELi0ELi1ELi2ENSB_IJLi1ELi16ELi1ELi16EEEELi4ELNS_13LoopSchedulerE1ELNS_15PipelineVersionE0EDF16_DF16_EELb0EEEvNT_8ArgumentE
    .private_segment_fixed_size: 0
    .sgpr_count:     6
    .sgpr_spill_count: 0
    .symbol:         _ZN2ck27kernel_gemm_xdl_cshuffle_v1INS_43GridwiseGemm_k0mk1_k0nk1_mn_xdl_cshuffle_v1INS_13tensor_layout4gemm8RowMajorES4_S4_DF16_DF16_fDF16_DF16_NS_16tensor_operation12element_wise11PassThroughES7_S7_LNS5_6device18GemmSpecializationE0ELNS_25InMemoryDataOperationEnumE0ELi1ELi256ELi256ELi128ELi32ELi8ELi2ELi16ELi16ELi8ELi2ENS_8SequenceIJLi4ELi64ELi1EEEENSB_IJLi1ELi0ELi2EEEESD_Li2ELi8ELi8ELb0ELi1ENSB_IJLi8ELi32ELi1EEEENSB_IJLi0ELi2ELi1EEEESF_Li1ELi4ELi2ELb0ELi0ELi1ELi2ENSB_IJLi1ELi16ELi1ELi16EEEELi4ELNS_13LoopSchedulerE1ELNS_15PipelineVersionE0EDF16_DF16_EELb0EEEvNT_8ArgumentE.kd
    .uniform_work_group_size: 1
    .uses_dynamic_stack: false
    .vgpr_count:     0
    .vgpr_spill_count: 0
    .wavefront_size: 64
  - .agpr_count:     0
    .args:
      - .actual_access:  read_only
        .address_space:  global
        .offset:         0
        .size:           8
        .value_kind:     global_buffer
      - .actual_access:  read_only
        .address_space:  global
        .offset:         8
        .size:           8
        .value_kind:     global_buffer
      - .actual_access:  write_only
        .address_space:  global
        .offset:         16
        .size:           8
        .value_kind:     global_buffer
      - .offset:         24
        .size:           4
        .value_kind:     by_value
      - .offset:         28
        .size:           4
        .value_kind:     by_value
      - .offset:         32
        .size:           4
        .value_kind:     by_value
      - .offset:         36
        .size:           1
        .value_kind:     by_value
      - .offset:         37
        .size:           1
        .value_kind:     by_value
      - .offset:         38
        .size:           1
        .value_kind:     by_value
      - .offset:         40
        .size:           4
        .value_kind:     hidden_block_count_x
      - .offset:         44
        .size:           4
        .value_kind:     hidden_block_count_y
      - .offset:         48
        .size:           4
        .value_kind:     hidden_block_count_z
      - .offset:         52
        .size:           2
        .value_kind:     hidden_group_size_x
      - .offset:         54
        .size:           2
        .value_kind:     hidden_group_size_y
      - .offset:         56
        .size:           2
        .value_kind:     hidden_group_size_z
      - .offset:         58
        .size:           2
        .value_kind:     hidden_remainder_x
      - .offset:         60
        .size:           2
        .value_kind:     hidden_remainder_y
      - .offset:         62
        .size:           2
        .value_kind:     hidden_remainder_z
      - .offset:         80
        .size:           8
        .value_kind:     hidden_global_offset_x
      - .offset:         88
        .size:           8
        .value_kind:     hidden_global_offset_y
      - .offset:         96
        .size:           8
        .value_kind:     hidden_global_offset_z
      - .offset:         104
        .size:           2
        .value_kind:     hidden_grid_dims
    .group_segment_fixed_size: 0
    .kernarg_segment_align: 8
    .kernarg_segment_size: 296
    .language:       OpenCL C
    .language_version:
      - 2
      - 0
    .max_flat_workgroup_size: 256
    .name:           _ZN2ck17naive_gemm_kernelINS_13tensor_layout4gemm8RowMajorES3_S3_DF16_DF16_DF16_fNS_16tensor_operation12element_wise11PassThroughES6_S6_DF16_DF16_EEvPKT2_PKT3_PT4_iiiT6_T7_T8_
    .private_segment_fixed_size: 0
    .sgpr_count:     16
    .sgpr_spill_count: 0
    .symbol:         _ZN2ck17naive_gemm_kernelINS_13tensor_layout4gemm8RowMajorES3_S3_DF16_DF16_DF16_fNS_16tensor_operation12element_wise11PassThroughES6_S6_DF16_DF16_EEvPKT2_PKT3_PT4_iiiT6_T7_T8_.kd
    .uniform_work_group_size: 1
    .uses_dynamic_stack: false
    .vgpr_count:     10
    .vgpr_spill_count: 0
    .wavefront_size: 64
amdhsa.target:   amdgcn-amd-amdhsa--gfx950
amdhsa.version:
  - 1
  - 2
...

	.end_amdgpu_metadata
